;; amdgpu-corpus repo=ROCm/hipCUB kind=compiled arch=gfx90a opt=O3
	.text
	.amdgcn_target "amdgcn-amd-amdhsa--gfx90a"
	.amdhsa_code_object_version 6
	.section	.text._Z25blocked_to_striped_kernelIsiLj2106ELj9EEvPT_PT0_,"axG",@progbits,_Z25blocked_to_striped_kernelIsiLj2106ELj9EEvPT_PT0_,comdat
	.protected	_Z25blocked_to_striped_kernelIsiLj2106ELj9EEvPT_PT0_ ; -- Begin function _Z25blocked_to_striped_kernelIsiLj2106ELj9EEvPT_PT0_
	.globl	_Z25blocked_to_striped_kernelIsiLj2106ELj9EEvPT_PT0_
	.p2align	8
	.type	_Z25blocked_to_striped_kernelIsiLj2106ELj9EEvPT_PT0_,@function
_Z25blocked_to_striped_kernelIsiLj2106ELj9EEvPT_PT0_: ; @_Z25blocked_to_striped_kernelIsiLj2106ELj9EEvPT_PT0_
; %bb.0:
	s_load_dwordx4 s[0:3], s[4:5], 0x0
	s_mul_i32 s4, s6, 0x83a
	s_mov_b32 s5, 0
	s_lshl_b64 s[6:7], s[4:5], 1
	v_mul_u32_u24_e32 v1, 9, v0
	s_waitcnt lgkmcnt(0)
	s_add_u32 s0, s0, s6
	s_addc_u32 s1, s1, s7
	v_lshlrev_b32_e32 v6, 1, v1
	global_load_dwordx4 v[2:5], v6, s[0:1]
	global_load_ushort v7, v6, s[0:1] offset:16
	v_lshlrev_b32_e32 v8, 1, v0
	v_lshlrev_b32_e32 v9, 2, v1
	s_lshl_b64 s[0:1], s[4:5], 2
	s_add_u32 s0, s2, s0
	s_addc_u32 s1, s3, s1
	s_waitcnt vmcnt(1)
	ds_write_b128 v6, v[2:5]
	s_waitcnt vmcnt(0)
	ds_write_b16 v6, v7 offset:16
	s_waitcnt lgkmcnt(0)
	s_barrier
	ds_read_i16 v0, v8
	ds_read_i16 v1, v8 offset:468
	ds_read_i16 v2, v8 offset:936
	;; [unrolled: 1-line block ×8, first 2 shown]
	s_waitcnt lgkmcnt(5)
	global_store_dwordx4 v9, v[0:3], s[0:1]
	s_waitcnt lgkmcnt(1)
	global_store_dwordx4 v9, v[4:7], s[0:1] offset:16
	s_waitcnt lgkmcnt(0)
	global_store_dword v9, v8, s[0:1] offset:32
	s_endpgm
	.section	.rodata,"a",@progbits
	.p2align	6, 0x0
	.amdhsa_kernel _Z25blocked_to_striped_kernelIsiLj2106ELj9EEvPT_PT0_
		.amdhsa_group_segment_fixed_size 4224
		.amdhsa_private_segment_fixed_size 0
		.amdhsa_kernarg_size 16
		.amdhsa_user_sgpr_count 6
		.amdhsa_user_sgpr_private_segment_buffer 1
		.amdhsa_user_sgpr_dispatch_ptr 0
		.amdhsa_user_sgpr_queue_ptr 0
		.amdhsa_user_sgpr_kernarg_segment_ptr 1
		.amdhsa_user_sgpr_dispatch_id 0
		.amdhsa_user_sgpr_flat_scratch_init 0
		.amdhsa_user_sgpr_kernarg_preload_length 0
		.amdhsa_user_sgpr_kernarg_preload_offset 0
		.amdhsa_user_sgpr_private_segment_size 0
		.amdhsa_uses_dynamic_stack 0
		.amdhsa_system_sgpr_private_segment_wavefront_offset 0
		.amdhsa_system_sgpr_workgroup_id_x 1
		.amdhsa_system_sgpr_workgroup_id_y 0
		.amdhsa_system_sgpr_workgroup_id_z 0
		.amdhsa_system_sgpr_workgroup_info 0
		.amdhsa_system_vgpr_workitem_id 0
		.amdhsa_next_free_vgpr 10
		.amdhsa_next_free_sgpr 8
		.amdhsa_accum_offset 12
		.amdhsa_reserve_vcc 0
		.amdhsa_reserve_flat_scratch 0
		.amdhsa_float_round_mode_32 0
		.amdhsa_float_round_mode_16_64 0
		.amdhsa_float_denorm_mode_32 3
		.amdhsa_float_denorm_mode_16_64 3
		.amdhsa_dx10_clamp 1
		.amdhsa_ieee_mode 1
		.amdhsa_fp16_overflow 0
		.amdhsa_tg_split 0
		.amdhsa_exception_fp_ieee_invalid_op 0
		.amdhsa_exception_fp_denorm_src 0
		.amdhsa_exception_fp_ieee_div_zero 0
		.amdhsa_exception_fp_ieee_overflow 0
		.amdhsa_exception_fp_ieee_underflow 0
		.amdhsa_exception_fp_ieee_inexact 0
		.amdhsa_exception_int_div_zero 0
	.end_amdhsa_kernel
	.section	.text._Z25blocked_to_striped_kernelIsiLj2106ELj9EEvPT_PT0_,"axG",@progbits,_Z25blocked_to_striped_kernelIsiLj2106ELj9EEvPT_PT0_,comdat
.Lfunc_end0:
	.size	_Z25blocked_to_striped_kernelIsiLj2106ELj9EEvPT_PT0_, .Lfunc_end0-_Z25blocked_to_striped_kernelIsiLj2106ELj9EEvPT_PT0_
                                        ; -- End function
	.section	.AMDGPU.csdata,"",@progbits
; Kernel info:
; codeLenInByte = 224
; NumSgprs: 12
; NumVgprs: 10
; NumAgprs: 0
; TotalNumVgprs: 10
; ScratchSize: 0
; MemoryBound: 0
; FloatMode: 240
; IeeeMode: 1
; LDSByteSize: 4224 bytes/workgroup (compile time only)
; SGPRBlocks: 1
; VGPRBlocks: 1
; NumSGPRsForWavesPerEU: 12
; NumVGPRsForWavesPerEU: 10
; AccumOffset: 12
; Occupancy: 8
; WaveLimiterHint : 0
; COMPUTE_PGM_RSRC2:SCRATCH_EN: 0
; COMPUTE_PGM_RSRC2:USER_SGPR: 6
; COMPUTE_PGM_RSRC2:TRAP_HANDLER: 0
; COMPUTE_PGM_RSRC2:TGID_X_EN: 1
; COMPUTE_PGM_RSRC2:TGID_Y_EN: 0
; COMPUTE_PGM_RSRC2:TGID_Z_EN: 0
; COMPUTE_PGM_RSRC2:TIDIG_COMP_CNT: 0
; COMPUTE_PGM_RSRC3_GFX90A:ACCUM_OFFSET: 2
; COMPUTE_PGM_RSRC3_GFX90A:TG_SPLIT: 0
	.section	.text._Z25blocked_to_striped_kernelItjLj300ELj3EEvPT_PT0_,"axG",@progbits,_Z25blocked_to_striped_kernelItjLj300ELj3EEvPT_PT0_,comdat
	.protected	_Z25blocked_to_striped_kernelItjLj300ELj3EEvPT_PT0_ ; -- Begin function _Z25blocked_to_striped_kernelItjLj300ELj3EEvPT_PT0_
	.globl	_Z25blocked_to_striped_kernelItjLj300ELj3EEvPT_PT0_
	.p2align	8
	.type	_Z25blocked_to_striped_kernelItjLj300ELj3EEvPT_PT0_,@function
_Z25blocked_to_striped_kernelItjLj300ELj3EEvPT_PT0_: ; @_Z25blocked_to_striped_kernelItjLj300ELj3EEvPT_PT0_
; %bb.0:
	s_load_dwordx4 s[0:3], s[4:5], 0x0
	s_mul_i32 s4, s6, 0x12c
	s_mov_b32 s5, 0
	s_lshl_b64 s[6:7], s[4:5], 1
	v_mul_u32_u24_e32 v3, 3, v0
	s_waitcnt lgkmcnt(0)
	s_add_u32 s0, s0, s6
	s_addc_u32 s1, s1, s7
	v_lshlrev_b32_e32 v1, 1, v3
	global_load_dword v2, v1, s[0:1]
	global_load_ushort v4, v1, s[0:1] offset:4
	v_lshlrev_b32_e32 v5, 1, v0
	s_lshl_b64 s[0:1], s[4:5], 2
	s_add_u32 s0, s2, s0
	s_addc_u32 s1, s3, s1
	v_lshlrev_b32_e32 v3, 2, v3
	s_waitcnt vmcnt(1)
	ds_write_b32 v1, v2
	s_waitcnt vmcnt(0)
	ds_write_b16 v1, v4 offset:4
	s_waitcnt lgkmcnt(0)
	s_barrier
	ds_read_u16 v0, v5
	ds_read_u16 v1, v5 offset:200
	ds_read_u16 v2, v5 offset:400
	s_waitcnt lgkmcnt(0)
	global_store_dwordx3 v3, v[0:2], s[0:1]
	s_endpgm
	.section	.rodata,"a",@progbits
	.p2align	6, 0x0
	.amdhsa_kernel _Z25blocked_to_striped_kernelItjLj300ELj3EEvPT_PT0_
		.amdhsa_group_segment_fixed_size 608
		.amdhsa_private_segment_fixed_size 0
		.amdhsa_kernarg_size 16
		.amdhsa_user_sgpr_count 6
		.amdhsa_user_sgpr_private_segment_buffer 1
		.amdhsa_user_sgpr_dispatch_ptr 0
		.amdhsa_user_sgpr_queue_ptr 0
		.amdhsa_user_sgpr_kernarg_segment_ptr 1
		.amdhsa_user_sgpr_dispatch_id 0
		.amdhsa_user_sgpr_flat_scratch_init 0
		.amdhsa_user_sgpr_kernarg_preload_length 0
		.amdhsa_user_sgpr_kernarg_preload_offset 0
		.amdhsa_user_sgpr_private_segment_size 0
		.amdhsa_uses_dynamic_stack 0
		.amdhsa_system_sgpr_private_segment_wavefront_offset 0
		.amdhsa_system_sgpr_workgroup_id_x 1
		.amdhsa_system_sgpr_workgroup_id_y 0
		.amdhsa_system_sgpr_workgroup_id_z 0
		.amdhsa_system_sgpr_workgroup_info 0
		.amdhsa_system_vgpr_workitem_id 0
		.amdhsa_next_free_vgpr 6
		.amdhsa_next_free_sgpr 8
		.amdhsa_accum_offset 8
		.amdhsa_reserve_vcc 0
		.amdhsa_reserve_flat_scratch 0
		.amdhsa_float_round_mode_32 0
		.amdhsa_float_round_mode_16_64 0
		.amdhsa_float_denorm_mode_32 3
		.amdhsa_float_denorm_mode_16_64 3
		.amdhsa_dx10_clamp 1
		.amdhsa_ieee_mode 1
		.amdhsa_fp16_overflow 0
		.amdhsa_tg_split 0
		.amdhsa_exception_fp_ieee_invalid_op 0
		.amdhsa_exception_fp_denorm_src 0
		.amdhsa_exception_fp_ieee_div_zero 0
		.amdhsa_exception_fp_ieee_overflow 0
		.amdhsa_exception_fp_ieee_underflow 0
		.amdhsa_exception_fp_ieee_inexact 0
		.amdhsa_exception_int_div_zero 0
	.end_amdhsa_kernel
	.section	.text._Z25blocked_to_striped_kernelItjLj300ELj3EEvPT_PT0_,"axG",@progbits,_Z25blocked_to_striped_kernelItjLj300ELj3EEvPT_PT0_,comdat
.Lfunc_end1:
	.size	_Z25blocked_to_striped_kernelItjLj300ELj3EEvPT_PT0_, .Lfunc_end1-_Z25blocked_to_striped_kernelItjLj300ELj3EEvPT_PT0_
                                        ; -- End function
	.section	.AMDGPU.csdata,"",@progbits
; Kernel info:
; codeLenInByte = 152
; NumSgprs: 12
; NumVgprs: 6
; NumAgprs: 0
; TotalNumVgprs: 6
; ScratchSize: 0
; MemoryBound: 0
; FloatMode: 240
; IeeeMode: 1
; LDSByteSize: 608 bytes/workgroup (compile time only)
; SGPRBlocks: 1
; VGPRBlocks: 0
; NumSGPRsForWavesPerEU: 12
; NumVGPRsForWavesPerEU: 6
; AccumOffset: 8
; Occupancy: 8
; WaveLimiterHint : 0
; COMPUTE_PGM_RSRC2:SCRATCH_EN: 0
; COMPUTE_PGM_RSRC2:USER_SGPR: 6
; COMPUTE_PGM_RSRC2:TRAP_HANDLER: 0
; COMPUTE_PGM_RSRC2:TGID_X_EN: 1
; COMPUTE_PGM_RSRC2:TGID_Y_EN: 0
; COMPUTE_PGM_RSRC2:TGID_Z_EN: 0
; COMPUTE_PGM_RSRC2:TIDIG_COMP_CNT: 0
; COMPUTE_PGM_RSRC3_GFX90A:ACCUM_OFFSET: 1
; COMPUTE_PGM_RSRC3_GFX90A:TG_SPLIT: 0
	.section	.text._Z25blocked_to_striped_kernelIc5dummyIdELj928ELj2EEvPT_PT0_,"axG",@progbits,_Z25blocked_to_striped_kernelIc5dummyIdELj928ELj2EEvPT_PT0_,comdat
	.protected	_Z25blocked_to_striped_kernelIc5dummyIdELj928ELj2EEvPT_PT0_ ; -- Begin function _Z25blocked_to_striped_kernelIc5dummyIdELj928ELj2EEvPT_PT0_
	.globl	_Z25blocked_to_striped_kernelIc5dummyIdELj928ELj2EEvPT_PT0_
	.p2align	8
	.type	_Z25blocked_to_striped_kernelIc5dummyIdELj928ELj2EEvPT_PT0_,@function
_Z25blocked_to_striped_kernelIc5dummyIdELj928ELj2EEvPT_PT0_: ; @_Z25blocked_to_striped_kernelIc5dummyIdELj928ELj2EEvPT_PT0_
; %bb.0:
	s_load_dwordx4 s[0:3], s[4:5], 0x0
	s_mul_i32 s4, s6, 0x3a0
	v_lshlrev_b32_e32 v1, 1, v0
	v_lshrrev_b32_e32 v3, 4, v0
	v_lshrrev_b32_e32 v4, 5, v0
	s_waitcnt lgkmcnt(0)
	s_add_u32 s0, s0, s4
	s_addc_u32 s1, s1, 0
	global_load_ushort v2, v1, s[0:1]
	v_add_u32_e32 v5, 0x1d0, v0
	v_and_b32_e32 v3, 28, v3
	v_and_b32_e32 v4, 12, v4
	v_lshrrev_b32_e32 v5, 5, v5
	v_add_u32_e32 v1, v3, v1
	v_add_u32_e32 v3, v4, v0
	v_and_b32_e32 v4, 28, v5
	v_lshlrev_b32_e32 v8, 5, v0
	v_add_u32_e32 v0, v4, v0
	s_mov_b32 s5, 0
	s_lshl_b64 s[0:1], s[4:5], 4
	s_add_u32 s0, s2, s0
	s_addc_u32 s1, s3, s1
	s_waitcnt vmcnt(0)
	v_lshrrev_b16_e32 v4, 8, v2
	ds_write_b8 v1, v2
	ds_write_b8 v1, v4 offset:1
	s_waitcnt lgkmcnt(0)
	s_barrier
	ds_read_i8 v1, v3
	ds_read_i8 v0, v0 offset:464
	s_waitcnt lgkmcnt(1)
	v_add_u32_e32 v2, 1, v1
	v_lshlrev_b32_e32 v3, 1, v1
	s_waitcnt lgkmcnt(0)
	v_add_u32_e32 v4, 1, v0
	v_lshlrev_b32_e32 v6, 1, v0
	v_cvt_f64_i32_e32 v[0:1], v2
	v_cvt_f64_i32_e32 v[2:3], v3
	;; [unrolled: 1-line block ×4, first 2 shown]
	global_store_dwordx4 v8, v[0:3], s[0:1]
	global_store_dwordx4 v8, v[4:7], s[0:1] offset:16
	s_endpgm
	.section	.rodata,"a",@progbits
	.p2align	6, 0x0
	.amdhsa_kernel _Z25blocked_to_striped_kernelIc5dummyIdELj928ELj2EEvPT_PT0_
		.amdhsa_group_segment_fixed_size 960
		.amdhsa_private_segment_fixed_size 0
		.amdhsa_kernarg_size 16
		.amdhsa_user_sgpr_count 6
		.amdhsa_user_sgpr_private_segment_buffer 1
		.amdhsa_user_sgpr_dispatch_ptr 0
		.amdhsa_user_sgpr_queue_ptr 0
		.amdhsa_user_sgpr_kernarg_segment_ptr 1
		.amdhsa_user_sgpr_dispatch_id 0
		.amdhsa_user_sgpr_flat_scratch_init 0
		.amdhsa_user_sgpr_kernarg_preload_length 0
		.amdhsa_user_sgpr_kernarg_preload_offset 0
		.amdhsa_user_sgpr_private_segment_size 0
		.amdhsa_uses_dynamic_stack 0
		.amdhsa_system_sgpr_private_segment_wavefront_offset 0
		.amdhsa_system_sgpr_workgroup_id_x 1
		.amdhsa_system_sgpr_workgroup_id_y 0
		.amdhsa_system_sgpr_workgroup_id_z 0
		.amdhsa_system_sgpr_workgroup_info 0
		.amdhsa_system_vgpr_workitem_id 0
		.amdhsa_next_free_vgpr 9
		.amdhsa_next_free_sgpr 7
		.amdhsa_accum_offset 12
		.amdhsa_reserve_vcc 0
		.amdhsa_reserve_flat_scratch 0
		.amdhsa_float_round_mode_32 0
		.amdhsa_float_round_mode_16_64 0
		.amdhsa_float_denorm_mode_32 3
		.amdhsa_float_denorm_mode_16_64 3
		.amdhsa_dx10_clamp 1
		.amdhsa_ieee_mode 1
		.amdhsa_fp16_overflow 0
		.amdhsa_tg_split 0
		.amdhsa_exception_fp_ieee_invalid_op 0
		.amdhsa_exception_fp_denorm_src 0
		.amdhsa_exception_fp_ieee_div_zero 0
		.amdhsa_exception_fp_ieee_overflow 0
		.amdhsa_exception_fp_ieee_underflow 0
		.amdhsa_exception_fp_ieee_inexact 0
		.amdhsa_exception_int_div_zero 0
	.end_amdhsa_kernel
	.section	.text._Z25blocked_to_striped_kernelIc5dummyIdELj928ELj2EEvPT_PT0_,"axG",@progbits,_Z25blocked_to_striped_kernelIc5dummyIdELj928ELj2EEvPT_PT0_,comdat
.Lfunc_end2:
	.size	_Z25blocked_to_striped_kernelIc5dummyIdELj928ELj2EEvPT_PT0_, .Lfunc_end2-_Z25blocked_to_striped_kernelIc5dummyIdELj928ELj2EEvPT_PT0_
                                        ; -- End function
	.section	.AMDGPU.csdata,"",@progbits
; Kernel info:
; codeLenInByte = 212
; NumSgprs: 11
; NumVgprs: 9
; NumAgprs: 0
; TotalNumVgprs: 9
; ScratchSize: 0
; MemoryBound: 0
; FloatMode: 240
; IeeeMode: 1
; LDSByteSize: 960 bytes/workgroup (compile time only)
; SGPRBlocks: 1
; VGPRBlocks: 1
; NumSGPRsForWavesPerEU: 11
; NumVGPRsForWavesPerEU: 9
; AccumOffset: 12
; Occupancy: 8
; WaveLimiterHint : 0
; COMPUTE_PGM_RSRC2:SCRATCH_EN: 0
; COMPUTE_PGM_RSRC2:USER_SGPR: 6
; COMPUTE_PGM_RSRC2:TRAP_HANDLER: 0
; COMPUTE_PGM_RSRC2:TGID_X_EN: 1
; COMPUTE_PGM_RSRC2:TGID_Y_EN: 0
; COMPUTE_PGM_RSRC2:TGID_Z_EN: 0
; COMPUTE_PGM_RSRC2:TIDIG_COMP_CNT: 0
; COMPUTE_PGM_RSRC3_GFX90A:ACCUM_OFFSET: 2
; COMPUTE_PGM_RSRC3_GFX90A:TG_SPLIT: 0
	.section	.text._Z25blocked_to_striped_kernelIfiLj165ELj5EEvPT_PT0_,"axG",@progbits,_Z25blocked_to_striped_kernelIfiLj165ELj5EEvPT_PT0_,comdat
	.protected	_Z25blocked_to_striped_kernelIfiLj165ELj5EEvPT_PT0_ ; -- Begin function _Z25blocked_to_striped_kernelIfiLj165ELj5EEvPT_PT0_
	.globl	_Z25blocked_to_striped_kernelIfiLj165ELj5EEvPT_PT0_
	.p2align	8
	.type	_Z25blocked_to_striped_kernelIfiLj165ELj5EEvPT_PT0_,@function
_Z25blocked_to_striped_kernelIfiLj165ELj5EEvPT_PT0_: ; @_Z25blocked_to_striped_kernelIfiLj165ELj5EEvPT_PT0_
; %bb.0:
	s_load_dwordx4 s[0:3], s[4:5], 0x0
	s_mul_i32 s4, s6, 0xa5
	s_mov_b32 s5, 0
	s_lshl_b64 s[4:5], s[4:5], 2
	v_mul_u32_u24_e32 v1, 5, v0
	s_waitcnt lgkmcnt(0)
	s_add_u32 s0, s0, s4
	s_addc_u32 s1, s1, s5
	v_lshlrev_b32_e32 v6, 2, v1
	global_load_dwordx4 v[2:5], v6, s[0:1]
	global_load_dword v1, v6, s[0:1] offset:16
	v_lshlrev_b32_e32 v7, 2, v0
	s_add_u32 s0, s2, s4
	s_addc_u32 s1, s3, s5
	s_waitcnt vmcnt(1)
	ds_write2_b32 v6, v2, v3 offset1:1
	ds_write2_b32 v6, v4, v5 offset0:2 offset1:3
	s_waitcnt vmcnt(0)
	ds_write_b32 v6, v1 offset:16
	s_waitcnt lgkmcnt(0)
	s_barrier
	ds_read2_b32 v[0:1], v7 offset1:33
	ds_read2_b32 v[2:3], v7 offset0:66 offset1:99
	ds_read_b32 v4, v7 offset:528
	s_waitcnt lgkmcnt(2)
	v_cvt_i32_f32_e32 v1, v1
	v_cvt_i32_f32_e32 v0, v0
	s_waitcnt lgkmcnt(1)
	v_cvt_i32_f32_e32 v3, v3
	v_cvt_i32_f32_e32 v2, v2
	s_waitcnt lgkmcnt(0)
	v_cvt_i32_f32_e32 v4, v4
	global_store_dwordx4 v6, v[0:3], s[0:1]
	global_store_dword v6, v4, s[0:1] offset:16
	s_endpgm
	.section	.rodata,"a",@progbits
	.p2align	6, 0x0
	.amdhsa_kernel _Z25blocked_to_striped_kernelIfiLj165ELj5EEvPT_PT0_
		.amdhsa_group_segment_fixed_size 672
		.amdhsa_private_segment_fixed_size 0
		.amdhsa_kernarg_size 16
		.amdhsa_user_sgpr_count 6
		.amdhsa_user_sgpr_private_segment_buffer 1
		.amdhsa_user_sgpr_dispatch_ptr 0
		.amdhsa_user_sgpr_queue_ptr 0
		.amdhsa_user_sgpr_kernarg_segment_ptr 1
		.amdhsa_user_sgpr_dispatch_id 0
		.amdhsa_user_sgpr_flat_scratch_init 0
		.amdhsa_user_sgpr_kernarg_preload_length 0
		.amdhsa_user_sgpr_kernarg_preload_offset 0
		.amdhsa_user_sgpr_private_segment_size 0
		.amdhsa_uses_dynamic_stack 0
		.amdhsa_system_sgpr_private_segment_wavefront_offset 0
		.amdhsa_system_sgpr_workgroup_id_x 1
		.amdhsa_system_sgpr_workgroup_id_y 0
		.amdhsa_system_sgpr_workgroup_id_z 0
		.amdhsa_system_sgpr_workgroup_info 0
		.amdhsa_system_vgpr_workitem_id 0
		.amdhsa_next_free_vgpr 8
		.amdhsa_next_free_sgpr 7
		.amdhsa_accum_offset 8
		.amdhsa_reserve_vcc 0
		.amdhsa_reserve_flat_scratch 0
		.amdhsa_float_round_mode_32 0
		.amdhsa_float_round_mode_16_64 0
		.amdhsa_float_denorm_mode_32 3
		.amdhsa_float_denorm_mode_16_64 3
		.amdhsa_dx10_clamp 1
		.amdhsa_ieee_mode 1
		.amdhsa_fp16_overflow 0
		.amdhsa_tg_split 0
		.amdhsa_exception_fp_ieee_invalid_op 0
		.amdhsa_exception_fp_denorm_src 0
		.amdhsa_exception_fp_ieee_div_zero 0
		.amdhsa_exception_fp_ieee_overflow 0
		.amdhsa_exception_fp_ieee_underflow 0
		.amdhsa_exception_fp_ieee_inexact 0
		.amdhsa_exception_int_div_zero 0
	.end_amdhsa_kernel
	.section	.text._Z25blocked_to_striped_kernelIfiLj165ELj5EEvPT_PT0_,"axG",@progbits,_Z25blocked_to_striped_kernelIfiLj165ELj5EEvPT_PT0_,comdat
.Lfunc_end3:
	.size	_Z25blocked_to_striped_kernelIfiLj165ELj5EEvPT_PT0_, .Lfunc_end3-_Z25blocked_to_striped_kernelIfiLj165ELj5EEvPT_PT0_
                                        ; -- End function
	.section	.AMDGPU.csdata,"",@progbits
; Kernel info:
; codeLenInByte = 188
; NumSgprs: 11
; NumVgprs: 8
; NumAgprs: 0
; TotalNumVgprs: 8
; ScratchSize: 0
; MemoryBound: 0
; FloatMode: 240
; IeeeMode: 1
; LDSByteSize: 672 bytes/workgroup (compile time only)
; SGPRBlocks: 1
; VGPRBlocks: 0
; NumSGPRsForWavesPerEU: 11
; NumVGPRsForWavesPerEU: 8
; AccumOffset: 8
; Occupancy: 8
; WaveLimiterHint : 0
; COMPUTE_PGM_RSRC2:SCRATCH_EN: 0
; COMPUTE_PGM_RSRC2:USER_SGPR: 6
; COMPUTE_PGM_RSRC2:TRAP_HANDLER: 0
; COMPUTE_PGM_RSRC2:TGID_X_EN: 1
; COMPUTE_PGM_RSRC2:TGID_Y_EN: 0
; COMPUTE_PGM_RSRC2:TGID_Z_EN: 0
; COMPUTE_PGM_RSRC2:TIDIG_COMP_CNT: 0
; COMPUTE_PGM_RSRC3_GFX90A:ACCUM_OFFSET: 1
; COMPUTE_PGM_RSRC3_GFX90A:TG_SPLIT: 0
	.section	.text._Z25blocked_to_striped_kernelIidLj165ELj5EEvPT_PT0_,"axG",@progbits,_Z25blocked_to_striped_kernelIidLj165ELj5EEvPT_PT0_,comdat
	.protected	_Z25blocked_to_striped_kernelIidLj165ELj5EEvPT_PT0_ ; -- Begin function _Z25blocked_to_striped_kernelIidLj165ELj5EEvPT_PT0_
	.globl	_Z25blocked_to_striped_kernelIidLj165ELj5EEvPT_PT0_
	.p2align	8
	.type	_Z25blocked_to_striped_kernelIidLj165ELj5EEvPT_PT0_,@function
_Z25blocked_to_striped_kernelIidLj165ELj5EEvPT_PT0_: ; @_Z25blocked_to_striped_kernelIidLj165ELj5EEvPT_PT0_
; %bb.0:
	s_load_dwordx4 s[0:3], s[4:5], 0x0
	s_mul_i32 s4, s6, 0xa5
	s_mov_b32 s5, 0
	s_lshl_b64 s[6:7], s[4:5], 2
	v_mul_u32_u24_e32 v1, 5, v0
	s_waitcnt lgkmcnt(0)
	s_add_u32 s0, s0, s6
	s_addc_u32 s1, s1, s7
	v_lshlrev_b32_e32 v6, 2, v1
	global_load_dwordx4 v[2:5], v6, s[0:1]
	global_load_dword v7, v6, s[0:1] offset:16
	v_lshlrev_b32_e32 v0, 2, v0
	s_lshl_b64 s[0:1], s[4:5], 3
	s_add_u32 s0, s2, s0
	v_lshlrev_b32_e32 v10, 3, v1
	s_addc_u32 s1, s3, s1
	s_waitcnt vmcnt(1)
	ds_write2_b32 v6, v2, v3 offset1:1
	ds_write2_b32 v6, v4, v5 offset0:2 offset1:3
	s_waitcnt vmcnt(0)
	ds_write_b32 v6, v7 offset:16
	s_waitcnt lgkmcnt(0)
	s_barrier
	ds_read2_b32 v[2:3], v0 offset1:33
	ds_read2_b32 v[6:7], v0 offset0:66 offset1:99
	ds_read_b32 v8, v0 offset:528
	s_waitcnt lgkmcnt(2)
	v_cvt_f64_i32_e32 v[0:1], v2
	v_cvt_f64_i32_e32 v[2:3], v3
	s_waitcnt lgkmcnt(1)
	v_cvt_f64_i32_e32 v[4:5], v6
	v_cvt_f64_i32_e32 v[6:7], v7
	s_waitcnt lgkmcnt(0)
	v_cvt_f64_i32_e32 v[8:9], v8
	global_store_dwordx4 v10, v[0:3], s[0:1]
	global_store_dwordx4 v10, v[4:7], s[0:1] offset:16
	global_store_dwordx2 v10, v[8:9], s[0:1] offset:32
	s_endpgm
	.section	.rodata,"a",@progbits
	.p2align	6, 0x0
	.amdhsa_kernel _Z25blocked_to_striped_kernelIidLj165ELj5EEvPT_PT0_
		.amdhsa_group_segment_fixed_size 672
		.amdhsa_private_segment_fixed_size 0
		.amdhsa_kernarg_size 16
		.amdhsa_user_sgpr_count 6
		.amdhsa_user_sgpr_private_segment_buffer 1
		.amdhsa_user_sgpr_dispatch_ptr 0
		.amdhsa_user_sgpr_queue_ptr 0
		.amdhsa_user_sgpr_kernarg_segment_ptr 1
		.amdhsa_user_sgpr_dispatch_id 0
		.amdhsa_user_sgpr_flat_scratch_init 0
		.amdhsa_user_sgpr_kernarg_preload_length 0
		.amdhsa_user_sgpr_kernarg_preload_offset 0
		.amdhsa_user_sgpr_private_segment_size 0
		.amdhsa_uses_dynamic_stack 0
		.amdhsa_system_sgpr_private_segment_wavefront_offset 0
		.amdhsa_system_sgpr_workgroup_id_x 1
		.amdhsa_system_sgpr_workgroup_id_y 0
		.amdhsa_system_sgpr_workgroup_id_z 0
		.amdhsa_system_sgpr_workgroup_info 0
		.amdhsa_system_vgpr_workitem_id 0
		.amdhsa_next_free_vgpr 11
		.amdhsa_next_free_sgpr 8
		.amdhsa_accum_offset 12
		.amdhsa_reserve_vcc 0
		.amdhsa_reserve_flat_scratch 0
		.amdhsa_float_round_mode_32 0
		.amdhsa_float_round_mode_16_64 0
		.amdhsa_float_denorm_mode_32 3
		.amdhsa_float_denorm_mode_16_64 3
		.amdhsa_dx10_clamp 1
		.amdhsa_ieee_mode 1
		.amdhsa_fp16_overflow 0
		.amdhsa_tg_split 0
		.amdhsa_exception_fp_ieee_invalid_op 0
		.amdhsa_exception_fp_denorm_src 0
		.amdhsa_exception_fp_ieee_div_zero 0
		.amdhsa_exception_fp_ieee_overflow 0
		.amdhsa_exception_fp_ieee_underflow 0
		.amdhsa_exception_fp_ieee_inexact 0
		.amdhsa_exception_int_div_zero 0
	.end_amdhsa_kernel
	.section	.text._Z25blocked_to_striped_kernelIidLj165ELj5EEvPT_PT0_,"axG",@progbits,_Z25blocked_to_striped_kernelIidLj165ELj5EEvPT_PT0_,comdat
.Lfunc_end4:
	.size	_Z25blocked_to_striped_kernelIidLj165ELj5EEvPT_PT0_, .Lfunc_end4-_Z25blocked_to_striped_kernelIidLj165ELj5EEvPT_PT0_
                                        ; -- End function
	.section	.AMDGPU.csdata,"",@progbits
; Kernel info:
; codeLenInByte = 204
; NumSgprs: 12
; NumVgprs: 11
; NumAgprs: 0
; TotalNumVgprs: 11
; ScratchSize: 0
; MemoryBound: 0
; FloatMode: 240
; IeeeMode: 1
; LDSByteSize: 672 bytes/workgroup (compile time only)
; SGPRBlocks: 1
; VGPRBlocks: 1
; NumSGPRsForWavesPerEU: 12
; NumVGPRsForWavesPerEU: 11
; AccumOffset: 12
; Occupancy: 8
; WaveLimiterHint : 0
; COMPUTE_PGM_RSRC2:SCRATCH_EN: 0
; COMPUTE_PGM_RSRC2:USER_SGPR: 6
; COMPUTE_PGM_RSRC2:TRAP_HANDLER: 0
; COMPUTE_PGM_RSRC2:TGID_X_EN: 1
; COMPUTE_PGM_RSRC2:TGID_Y_EN: 0
; COMPUTE_PGM_RSRC2:TGID_Z_EN: 0
; COMPUTE_PGM_RSRC2:TIDIG_COMP_CNT: 0
; COMPUTE_PGM_RSRC3_GFX90A:ACCUM_OFFSET: 2
; COMPUTE_PGM_RSRC3_GFX90A:TG_SPLIT: 0
	.section	.text._Z25blocked_to_striped_kernelIyyLj192ELj3EEvPT_PT0_,"axG",@progbits,_Z25blocked_to_striped_kernelIyyLj192ELj3EEvPT_PT0_,comdat
	.protected	_Z25blocked_to_striped_kernelIyyLj192ELj3EEvPT_PT0_ ; -- Begin function _Z25blocked_to_striped_kernelIyyLj192ELj3EEvPT_PT0_
	.globl	_Z25blocked_to_striped_kernelIyyLj192ELj3EEvPT_PT0_
	.p2align	8
	.type	_Z25blocked_to_striped_kernelIyyLj192ELj3EEvPT_PT0_,@function
_Z25blocked_to_striped_kernelIyyLj192ELj3EEvPT_PT0_: ; @_Z25blocked_to_striped_kernelIyyLj192ELj3EEvPT_PT0_
; %bb.0:
	s_load_dwordx4 s[0:3], s[4:5], 0x0
	s_mul_i32 s4, s6, 0xc0
	s_mov_b32 s5, 0
	s_lshl_b64 s[4:5], s[4:5], 3
	v_mul_u32_u24_e32 v1, 3, v0
	s_waitcnt lgkmcnt(0)
	s_add_u32 s0, s0, s4
	s_addc_u32 s1, s1, s5
	v_lshlrev_b32_e32 v8, 3, v1
	global_load_dwordx4 v[2:5], v8, s[0:1]
	global_load_dwordx2 v[6:7], v8, s[0:1] offset:16
	v_lshlrev_b32_e32 v9, 3, v0
	s_add_u32 s0, s2, s4
	s_addc_u32 s1, s3, s5
	s_waitcnt vmcnt(1)
	ds_write2_b64 v8, v[2:3], v[4:5] offset1:1
	s_waitcnt vmcnt(0)
	ds_write_b64 v8, v[6:7] offset:16
	s_waitcnt lgkmcnt(0)
	s_barrier
	ds_read2st64_b64 v[0:3], v9 offset1:1
	ds_read_b64 v[4:5], v9 offset:1024
	s_waitcnt lgkmcnt(1)
	global_store_dwordx4 v8, v[0:3], s[0:1]
	s_waitcnt lgkmcnt(0)
	global_store_dwordx2 v8, v[4:5], s[0:1] offset:16
	s_endpgm
	.section	.rodata,"a",@progbits
	.p2align	6, 0x0
	.amdhsa_kernel _Z25blocked_to_striped_kernelIyyLj192ELj3EEvPT_PT0_
		.amdhsa_group_segment_fixed_size 1536
		.amdhsa_private_segment_fixed_size 0
		.amdhsa_kernarg_size 16
		.amdhsa_user_sgpr_count 6
		.amdhsa_user_sgpr_private_segment_buffer 1
		.amdhsa_user_sgpr_dispatch_ptr 0
		.amdhsa_user_sgpr_queue_ptr 0
		.amdhsa_user_sgpr_kernarg_segment_ptr 1
		.amdhsa_user_sgpr_dispatch_id 0
		.amdhsa_user_sgpr_flat_scratch_init 0
		.amdhsa_user_sgpr_kernarg_preload_length 0
		.amdhsa_user_sgpr_kernarg_preload_offset 0
		.amdhsa_user_sgpr_private_segment_size 0
		.amdhsa_uses_dynamic_stack 0
		.amdhsa_system_sgpr_private_segment_wavefront_offset 0
		.amdhsa_system_sgpr_workgroup_id_x 1
		.amdhsa_system_sgpr_workgroup_id_y 0
		.amdhsa_system_sgpr_workgroup_id_z 0
		.amdhsa_system_sgpr_workgroup_info 0
		.amdhsa_system_vgpr_workitem_id 0
		.amdhsa_next_free_vgpr 10
		.amdhsa_next_free_sgpr 7
		.amdhsa_accum_offset 12
		.amdhsa_reserve_vcc 0
		.amdhsa_reserve_flat_scratch 0
		.amdhsa_float_round_mode_32 0
		.amdhsa_float_round_mode_16_64 0
		.amdhsa_float_denorm_mode_32 3
		.amdhsa_float_denorm_mode_16_64 3
		.amdhsa_dx10_clamp 1
		.amdhsa_ieee_mode 1
		.amdhsa_fp16_overflow 0
		.amdhsa_tg_split 0
		.amdhsa_exception_fp_ieee_invalid_op 0
		.amdhsa_exception_fp_denorm_src 0
		.amdhsa_exception_fp_ieee_div_zero 0
		.amdhsa_exception_fp_ieee_overflow 0
		.amdhsa_exception_fp_ieee_underflow 0
		.amdhsa_exception_fp_ieee_inexact 0
		.amdhsa_exception_int_div_zero 0
	.end_amdhsa_kernel
	.section	.text._Z25blocked_to_striped_kernelIyyLj192ELj3EEvPT_PT0_,"axG",@progbits,_Z25blocked_to_striped_kernelIyyLj192ELj3EEvPT_PT0_,comdat
.Lfunc_end5:
	.size	_Z25blocked_to_striped_kernelIyyLj192ELj3EEvPT_PT0_, .Lfunc_end5-_Z25blocked_to_striped_kernelIyyLj192ELj3EEvPT_PT0_
                                        ; -- End function
	.section	.AMDGPU.csdata,"",@progbits
; Kernel info:
; codeLenInByte = 148
; NumSgprs: 11
; NumVgprs: 10
; NumAgprs: 0
; TotalNumVgprs: 10
; ScratchSize: 0
; MemoryBound: 1
; FloatMode: 240
; IeeeMode: 1
; LDSByteSize: 1536 bytes/workgroup (compile time only)
; SGPRBlocks: 1
; VGPRBlocks: 1
; NumSGPRsForWavesPerEU: 11
; NumVGPRsForWavesPerEU: 10
; AccumOffset: 12
; Occupancy: 8
; WaveLimiterHint : 1
; COMPUTE_PGM_RSRC2:SCRATCH_EN: 0
; COMPUTE_PGM_RSRC2:USER_SGPR: 6
; COMPUTE_PGM_RSRC2:TRAP_HANDLER: 0
; COMPUTE_PGM_RSRC2:TGID_X_EN: 1
; COMPUTE_PGM_RSRC2:TGID_Y_EN: 0
; COMPUTE_PGM_RSRC2:TGID_Z_EN: 0
; COMPUTE_PGM_RSRC2:TIDIG_COMP_CNT: 0
; COMPUTE_PGM_RSRC3_GFX90A:ACCUM_OFFSET: 2
; COMPUTE_PGM_RSRC3_GFX90A:TG_SPLIT: 0
	.section	.text._Z25blocked_to_striped_kernelIiiLj384ELj3EEvPT_PT0_,"axG",@progbits,_Z25blocked_to_striped_kernelIiiLj384ELj3EEvPT_PT0_,comdat
	.protected	_Z25blocked_to_striped_kernelIiiLj384ELj3EEvPT_PT0_ ; -- Begin function _Z25blocked_to_striped_kernelIiiLj384ELj3EEvPT_PT0_
	.globl	_Z25blocked_to_striped_kernelIiiLj384ELj3EEvPT_PT0_
	.p2align	8
	.type	_Z25blocked_to_striped_kernelIiiLj384ELj3EEvPT_PT0_,@function
_Z25blocked_to_striped_kernelIiiLj384ELj3EEvPT_PT0_: ; @_Z25blocked_to_striped_kernelIiiLj384ELj3EEvPT_PT0_
; %bb.0:
	s_load_dwordx4 s[0:3], s[4:5], 0x0
	s_mul_i32 s4, s6, 0x180
	s_mov_b32 s5, 0
	s_lshl_b64 s[4:5], s[4:5], 2
	v_mul_u32_u24_e32 v1, 3, v0
	s_waitcnt lgkmcnt(0)
	s_add_u32 s0, s0, s4
	s_addc_u32 s1, s1, s5
	v_lshlrev_b32_e32 v5, 2, v1
	global_load_dwordx3 v[2:4], v5, s[0:1]
	v_lshlrev_b32_e32 v6, 2, v0
	s_add_u32 s0, s2, s4
	s_addc_u32 s1, s3, s5
	s_waitcnt vmcnt(0)
	ds_write2_b32 v5, v2, v3 offset1:1
	ds_write_b32 v5, v4 offset:8
	s_waitcnt lgkmcnt(0)
	s_barrier
	ds_read2st64_b32 v[0:1], v6 offset1:2
	ds_read_b32 v2, v6 offset:1024
	s_waitcnt lgkmcnt(0)
	global_store_dwordx3 v5, v[0:2], s[0:1]
	s_endpgm
	.section	.rodata,"a",@progbits
	.p2align	6, 0x0
	.amdhsa_kernel _Z25blocked_to_striped_kernelIiiLj384ELj3EEvPT_PT0_
		.amdhsa_group_segment_fixed_size 1536
		.amdhsa_private_segment_fixed_size 0
		.amdhsa_kernarg_size 16
		.amdhsa_user_sgpr_count 6
		.amdhsa_user_sgpr_private_segment_buffer 1
		.amdhsa_user_sgpr_dispatch_ptr 0
		.amdhsa_user_sgpr_queue_ptr 0
		.amdhsa_user_sgpr_kernarg_segment_ptr 1
		.amdhsa_user_sgpr_dispatch_id 0
		.amdhsa_user_sgpr_flat_scratch_init 0
		.amdhsa_user_sgpr_kernarg_preload_length 0
		.amdhsa_user_sgpr_kernarg_preload_offset 0
		.amdhsa_user_sgpr_private_segment_size 0
		.amdhsa_uses_dynamic_stack 0
		.amdhsa_system_sgpr_private_segment_wavefront_offset 0
		.amdhsa_system_sgpr_workgroup_id_x 1
		.amdhsa_system_sgpr_workgroup_id_y 0
		.amdhsa_system_sgpr_workgroup_id_z 0
		.amdhsa_system_sgpr_workgroup_info 0
		.amdhsa_system_vgpr_workitem_id 0
		.amdhsa_next_free_vgpr 7
		.amdhsa_next_free_sgpr 7
		.amdhsa_accum_offset 8
		.amdhsa_reserve_vcc 0
		.amdhsa_reserve_flat_scratch 0
		.amdhsa_float_round_mode_32 0
		.amdhsa_float_round_mode_16_64 0
		.amdhsa_float_denorm_mode_32 3
		.amdhsa_float_denorm_mode_16_64 3
		.amdhsa_dx10_clamp 1
		.amdhsa_ieee_mode 1
		.amdhsa_fp16_overflow 0
		.amdhsa_tg_split 0
		.amdhsa_exception_fp_ieee_invalid_op 0
		.amdhsa_exception_fp_denorm_src 0
		.amdhsa_exception_fp_ieee_div_zero 0
		.amdhsa_exception_fp_ieee_overflow 0
		.amdhsa_exception_fp_ieee_underflow 0
		.amdhsa_exception_fp_ieee_inexact 0
		.amdhsa_exception_int_div_zero 0
	.end_amdhsa_kernel
	.section	.text._Z25blocked_to_striped_kernelIiiLj384ELj3EEvPT_PT0_,"axG",@progbits,_Z25blocked_to_striped_kernelIiiLj384ELj3EEvPT_PT0_,comdat
.Lfunc_end6:
	.size	_Z25blocked_to_striped_kernelIiiLj384ELj3EEvPT_PT0_, .Lfunc_end6-_Z25blocked_to_striped_kernelIiiLj384ELj3EEvPT_PT0_
                                        ; -- End function
	.section	.AMDGPU.csdata,"",@progbits
; Kernel info:
; codeLenInByte = 124
; NumSgprs: 11
; NumVgprs: 7
; NumAgprs: 0
; TotalNumVgprs: 7
; ScratchSize: 0
; MemoryBound: 0
; FloatMode: 240
; IeeeMode: 1
; LDSByteSize: 1536 bytes/workgroup (compile time only)
; SGPRBlocks: 1
; VGPRBlocks: 0
; NumSGPRsForWavesPerEU: 11
; NumVGPRsForWavesPerEU: 7
; AccumOffset: 8
; Occupancy: 8
; WaveLimiterHint : 0
; COMPUTE_PGM_RSRC2:SCRATCH_EN: 0
; COMPUTE_PGM_RSRC2:USER_SGPR: 6
; COMPUTE_PGM_RSRC2:TRAP_HANDLER: 0
; COMPUTE_PGM_RSRC2:TGID_X_EN: 1
; COMPUTE_PGM_RSRC2:TGID_Y_EN: 0
; COMPUTE_PGM_RSRC2:TGID_Z_EN: 0
; COMPUTE_PGM_RSRC2:TIDIG_COMP_CNT: 0
; COMPUTE_PGM_RSRC3_GFX90A:ACCUM_OFFSET: 1
; COMPUTE_PGM_RSRC3_GFX90A:TG_SPLIT: 0
	.section	.text._Z25blocked_to_striped_kernelIs5dummyIfELj896ELj7EEvPT_PT0_,"axG",@progbits,_Z25blocked_to_striped_kernelIs5dummyIfELj896ELj7EEvPT_PT0_,comdat
	.protected	_Z25blocked_to_striped_kernelIs5dummyIfELj896ELj7EEvPT_PT0_ ; -- Begin function _Z25blocked_to_striped_kernelIs5dummyIfELj896ELj7EEvPT_PT0_
	.globl	_Z25blocked_to_striped_kernelIs5dummyIfELj896ELj7EEvPT_PT0_
	.p2align	8
	.type	_Z25blocked_to_striped_kernelIs5dummyIfELj896ELj7EEvPT_PT0_,@function
_Z25blocked_to_striped_kernelIs5dummyIfELj896ELj7EEvPT_PT0_: ; @_Z25blocked_to_striped_kernelIs5dummyIfELj896ELj7EEvPT_PT0_
; %bb.0:
	s_load_dwordx4 s[0:3], s[4:5], 0x0
	s_mul_i32 s4, s6, 0x380
	s_mov_b32 s5, 0
	s_lshl_b64 s[6:7], s[4:5], 1
	v_mul_u32_u24_e32 v1, 7, v0
	s_waitcnt lgkmcnt(0)
	s_add_u32 s0, s0, s6
	s_addc_u32 s1, s1, s7
	v_lshlrev_b32_e32 v5, 1, v1
	global_load_dwordx3 v[2:4], v5, s[0:1]
	global_load_ushort v6, v5, s[0:1] offset:12
	v_lshlrev_b32_e32 v0, 1, v0
	v_lshlrev_b32_e32 v14, 3, v1
	s_lshl_b64 s[0:1], s[4:5], 3
	s_add_u32 s0, s2, s0
	s_addc_u32 s1, s3, s1
	s_waitcnt vmcnt(1)
	ds_write_b96 v5, v[2:4]
	s_waitcnt vmcnt(0)
	ds_write_b16 v5, v6 offset:12
	s_waitcnt lgkmcnt(0)
	s_barrier
	ds_read_i16 v1, v0
	ds_read_i16 v2, v0 offset:256
	ds_read_i16 v3, v0 offset:512
	;; [unrolled: 1-line block ×6, first 2 shown]
	s_waitcnt lgkmcnt(6)
	v_add_u32_e32 v7, 1, v1
	v_lshlrev_b32_e32 v1, 1, v1
	s_waitcnt lgkmcnt(5)
	v_add_u32_e32 v8, 1, v2
	v_lshlrev_b32_e32 v2, 1, v2
	;; [unrolled: 3-line block ×5, first 2 shown]
	v_cvt_f32_i32_e32 v1, v1
	v_cvt_f32_i32_e32 v0, v7
	;; [unrolled: 1-line block ×4, first 2 shown]
	v_add_u32_e32 v13, 1, v5
	v_lshlrev_b32_e32 v15, 1, v5
	v_add_u32_e32 v16, 1, v6
	v_lshlrev_b32_e32 v17, 1, v6
	v_cvt_f32_i32_e32 v5, v10
	v_cvt_f32_i32_e32 v4, v9
	;; [unrolled: 1-line block ×10, first 2 shown]
	global_store_dwordx4 v14, v[0:3], s[0:1]
	global_store_dwordx4 v14, v[4:7], s[0:1] offset:16
	global_store_dwordx4 v14, v[8:11], s[0:1] offset:32
	global_store_dwordx2 v14, v[12:13], s[0:1] offset:48
	s_endpgm
	.section	.rodata,"a",@progbits
	.p2align	6, 0x0
	.amdhsa_kernel _Z25blocked_to_striped_kernelIs5dummyIfELj896ELj7EEvPT_PT0_
		.amdhsa_group_segment_fixed_size 1792
		.amdhsa_private_segment_fixed_size 0
		.amdhsa_kernarg_size 16
		.amdhsa_user_sgpr_count 6
		.amdhsa_user_sgpr_private_segment_buffer 1
		.amdhsa_user_sgpr_dispatch_ptr 0
		.amdhsa_user_sgpr_queue_ptr 0
		.amdhsa_user_sgpr_kernarg_segment_ptr 1
		.amdhsa_user_sgpr_dispatch_id 0
		.amdhsa_user_sgpr_flat_scratch_init 0
		.amdhsa_user_sgpr_kernarg_preload_length 0
		.amdhsa_user_sgpr_kernarg_preload_offset 0
		.amdhsa_user_sgpr_private_segment_size 0
		.amdhsa_uses_dynamic_stack 0
		.amdhsa_system_sgpr_private_segment_wavefront_offset 0
		.amdhsa_system_sgpr_workgroup_id_x 1
		.amdhsa_system_sgpr_workgroup_id_y 0
		.amdhsa_system_sgpr_workgroup_id_z 0
		.amdhsa_system_sgpr_workgroup_info 0
		.amdhsa_system_vgpr_workitem_id 0
		.amdhsa_next_free_vgpr 20
		.amdhsa_next_free_sgpr 8
		.amdhsa_accum_offset 20
		.amdhsa_reserve_vcc 0
		.amdhsa_reserve_flat_scratch 0
		.amdhsa_float_round_mode_32 0
		.amdhsa_float_round_mode_16_64 0
		.amdhsa_float_denorm_mode_32 3
		.amdhsa_float_denorm_mode_16_64 3
		.amdhsa_dx10_clamp 1
		.amdhsa_ieee_mode 1
		.amdhsa_fp16_overflow 0
		.amdhsa_tg_split 0
		.amdhsa_exception_fp_ieee_invalid_op 0
		.amdhsa_exception_fp_denorm_src 0
		.amdhsa_exception_fp_ieee_div_zero 0
		.amdhsa_exception_fp_ieee_overflow 0
		.amdhsa_exception_fp_ieee_underflow 0
		.amdhsa_exception_fp_ieee_inexact 0
		.amdhsa_exception_int_div_zero 0
	.end_amdhsa_kernel
	.section	.text._Z25blocked_to_striped_kernelIs5dummyIfELj896ELj7EEvPT_PT0_,"axG",@progbits,_Z25blocked_to_striped_kernelIs5dummyIfELj896ELj7EEvPT_PT0_,comdat
.Lfunc_end7:
	.size	_Z25blocked_to_striped_kernelIs5dummyIfELj896ELj7EEvPT_PT0_, .Lfunc_end7-_Z25blocked_to_striped_kernelIs5dummyIfELj896ELj7EEvPT_PT0_
                                        ; -- End function
	.section	.AMDGPU.csdata,"",@progbits
; Kernel info:
; codeLenInByte = 336
; NumSgprs: 12
; NumVgprs: 20
; NumAgprs: 0
; TotalNumVgprs: 20
; ScratchSize: 0
; MemoryBound: 0
; FloatMode: 240
; IeeeMode: 1
; LDSByteSize: 1792 bytes/workgroup (compile time only)
; SGPRBlocks: 1
; VGPRBlocks: 2
; NumSGPRsForWavesPerEU: 12
; NumVGPRsForWavesPerEU: 20
; AccumOffset: 20
; Occupancy: 8
; WaveLimiterHint : 0
; COMPUTE_PGM_RSRC2:SCRATCH_EN: 0
; COMPUTE_PGM_RSRC2:USER_SGPR: 6
; COMPUTE_PGM_RSRC2:TRAP_HANDLER: 0
; COMPUTE_PGM_RSRC2:TGID_X_EN: 1
; COMPUTE_PGM_RSRC2:TGID_Y_EN: 0
; COMPUTE_PGM_RSRC2:TGID_Z_EN: 0
; COMPUTE_PGM_RSRC2:TIDIG_COMP_CNT: 0
; COMPUTE_PGM_RSRC3_GFX90A:ACCUM_OFFSET: 4
; COMPUTE_PGM_RSRC3_GFX90A:TG_SPLIT: 0
	.section	.text._Z25blocked_to_striped_kernelIiiLj2560ELj5EEvPT_PT0_,"axG",@progbits,_Z25blocked_to_striped_kernelIiiLj2560ELj5EEvPT_PT0_,comdat
	.protected	_Z25blocked_to_striped_kernelIiiLj2560ELj5EEvPT_PT0_ ; -- Begin function _Z25blocked_to_striped_kernelIiiLj2560ELj5EEvPT_PT0_
	.globl	_Z25blocked_to_striped_kernelIiiLj2560ELj5EEvPT_PT0_
	.p2align	8
	.type	_Z25blocked_to_striped_kernelIiiLj2560ELj5EEvPT_PT0_,@function
_Z25blocked_to_striped_kernelIiiLj2560ELj5EEvPT_PT0_: ; @_Z25blocked_to_striped_kernelIiiLj2560ELj5EEvPT_PT0_
; %bb.0:
	s_load_dwordx4 s[0:3], s[4:5], 0x0
	s_mul_i32 s4, s6, 0xa00
	s_mov_b32 s5, 0
	s_lshl_b64 s[4:5], s[4:5], 2
	v_mul_u32_u24_e32 v1, 5, v0
	s_waitcnt lgkmcnt(0)
	s_add_u32 s0, s0, s4
	s_addc_u32 s1, s1, s5
	v_lshlrev_b32_e32 v6, 2, v1
	global_load_dwordx4 v[2:5], v6, s[0:1]
	global_load_dword v1, v6, s[0:1] offset:16
	v_lshlrev_b32_e32 v7, 2, v0
	s_add_u32 s0, s2, s4
	s_addc_u32 s1, s3, s5
	s_waitcnt vmcnt(1)
	ds_write2_b32 v6, v2, v3 offset1:1
	ds_write2_b32 v6, v4, v5 offset0:2 offset1:3
	s_waitcnt vmcnt(0)
	ds_write_b32 v6, v1 offset:16
	s_waitcnt lgkmcnt(0)
	s_barrier
	ds_read2st64_b32 v[0:1], v7 offset1:8
	ds_read2st64_b32 v[2:3], v7 offset0:16 offset1:24
	ds_read_b32 v4, v7 offset:8192
	s_waitcnt lgkmcnt(1)
	global_store_dwordx4 v6, v[0:3], s[0:1]
	s_waitcnt lgkmcnt(0)
	global_store_dword v6, v4, s[0:1] offset:16
	s_endpgm
	.section	.rodata,"a",@progbits
	.p2align	6, 0x0
	.amdhsa_kernel _Z25blocked_to_striped_kernelIiiLj2560ELj5EEvPT_PT0_
		.amdhsa_group_segment_fixed_size 10240
		.amdhsa_private_segment_fixed_size 0
		.amdhsa_kernarg_size 16
		.amdhsa_user_sgpr_count 6
		.amdhsa_user_sgpr_private_segment_buffer 1
		.amdhsa_user_sgpr_dispatch_ptr 0
		.amdhsa_user_sgpr_queue_ptr 0
		.amdhsa_user_sgpr_kernarg_segment_ptr 1
		.amdhsa_user_sgpr_dispatch_id 0
		.amdhsa_user_sgpr_flat_scratch_init 0
		.amdhsa_user_sgpr_kernarg_preload_length 0
		.amdhsa_user_sgpr_kernarg_preload_offset 0
		.amdhsa_user_sgpr_private_segment_size 0
		.amdhsa_uses_dynamic_stack 0
		.amdhsa_system_sgpr_private_segment_wavefront_offset 0
		.amdhsa_system_sgpr_workgroup_id_x 1
		.amdhsa_system_sgpr_workgroup_id_y 0
		.amdhsa_system_sgpr_workgroup_id_z 0
		.amdhsa_system_sgpr_workgroup_info 0
		.amdhsa_system_vgpr_workitem_id 0
		.amdhsa_next_free_vgpr 8
		.amdhsa_next_free_sgpr 7
		.amdhsa_accum_offset 8
		.amdhsa_reserve_vcc 0
		.amdhsa_reserve_flat_scratch 0
		.amdhsa_float_round_mode_32 0
		.amdhsa_float_round_mode_16_64 0
		.amdhsa_float_denorm_mode_32 3
		.amdhsa_float_denorm_mode_16_64 3
		.amdhsa_dx10_clamp 1
		.amdhsa_ieee_mode 1
		.amdhsa_fp16_overflow 0
		.amdhsa_tg_split 0
		.amdhsa_exception_fp_ieee_invalid_op 0
		.amdhsa_exception_fp_denorm_src 0
		.amdhsa_exception_fp_ieee_div_zero 0
		.amdhsa_exception_fp_ieee_overflow 0
		.amdhsa_exception_fp_ieee_underflow 0
		.amdhsa_exception_fp_ieee_inexact 0
		.amdhsa_exception_int_div_zero 0
	.end_amdhsa_kernel
	.section	.text._Z25blocked_to_striped_kernelIiiLj2560ELj5EEvPT_PT0_,"axG",@progbits,_Z25blocked_to_striped_kernelIiiLj2560ELj5EEvPT_PT0_,comdat
.Lfunc_end8:
	.size	_Z25blocked_to_striped_kernelIiiLj2560ELj5EEvPT_PT0_, .Lfunc_end8-_Z25blocked_to_striped_kernelIiiLj2560ELj5EEvPT_PT0_
                                        ; -- End function
	.section	.AMDGPU.csdata,"",@progbits
; Kernel info:
; codeLenInByte = 164
; NumSgprs: 11
; NumVgprs: 8
; NumAgprs: 0
; TotalNumVgprs: 8
; ScratchSize: 0
; MemoryBound: 0
; FloatMode: 240
; IeeeMode: 1
; LDSByteSize: 10240 bytes/workgroup (compile time only)
; SGPRBlocks: 1
; VGPRBlocks: 0
; NumSGPRsForWavesPerEU: 11
; NumVGPRsForWavesPerEU: 8
; AccumOffset: 8
; Occupancy: 8
; WaveLimiterHint : 0
; COMPUTE_PGM_RSRC2:SCRATCH_EN: 0
; COMPUTE_PGM_RSRC2:USER_SGPR: 6
; COMPUTE_PGM_RSRC2:TRAP_HANDLER: 0
; COMPUTE_PGM_RSRC2:TGID_X_EN: 1
; COMPUTE_PGM_RSRC2:TGID_Y_EN: 0
; COMPUTE_PGM_RSRC2:TGID_Z_EN: 0
; COMPUTE_PGM_RSRC2:TIDIG_COMP_CNT: 0
; COMPUTE_PGM_RSRC3_GFX90A:ACCUM_OFFSET: 1
; COMPUTE_PGM_RSRC3_GFX90A:TG_SPLIT: 0
	.section	.text._Z25blocked_to_striped_kernelIxxLj1024ELj4EEvPT_PT0_,"axG",@progbits,_Z25blocked_to_striped_kernelIxxLj1024ELj4EEvPT_PT0_,comdat
	.protected	_Z25blocked_to_striped_kernelIxxLj1024ELj4EEvPT_PT0_ ; -- Begin function _Z25blocked_to_striped_kernelIxxLj1024ELj4EEvPT_PT0_
	.globl	_Z25blocked_to_striped_kernelIxxLj1024ELj4EEvPT_PT0_
	.p2align	8
	.type	_Z25blocked_to_striped_kernelIxxLj1024ELj4EEvPT_PT0_,@function
_Z25blocked_to_striped_kernelIxxLj1024ELj4EEvPT_PT0_: ; @_Z25blocked_to_striped_kernelIxxLj1024ELj4EEvPT_PT0_
; %bb.0:
	s_load_dwordx4 s[0:3], s[4:5], 0x0
	s_lshl_b32 s4, s6, 10
	s_mov_b32 s5, 0
	s_lshl_b64 s[4:5], s[4:5], 3
	v_lshlrev_b32_e32 v10, 5, v0
	s_waitcnt lgkmcnt(0)
	s_add_u32 s0, s0, s4
	s_addc_u32 s1, s1, s5
	global_load_dwordx4 v[2:5], v10, s[0:1]
	global_load_dwordx4 v[6:9], v10, s[0:1] offset:16
	v_lshlrev_b32_e32 v1, 2, v0
	v_lshrrev_b32_e32 v11, 3, v0
	v_lshrrev_b32_e32 v12, 5, v0
	v_add_u32_e32 v13, 0x100, v0
	v_or_b32_e32 v14, 0x200, v0
	v_add_u32_e32 v15, 0x300, v0
	v_add_lshl_u32 v1, v11, v1, 3
	v_add_lshl_u32 v11, v12, v0, 3
	v_lshrrev_b32_e32 v12, 5, v13
	v_lshrrev_b32_e32 v13, 5, v14
	;; [unrolled: 1-line block ×3, first 2 shown]
	v_add_lshl_u32 v12, v12, v0, 3
	v_add_lshl_u32 v13, v13, v0, 3
	;; [unrolled: 1-line block ×3, first 2 shown]
	s_add_u32 s0, s2, s4
	s_addc_u32 s1, s3, s5
	s_waitcnt vmcnt(1)
	ds_write2_b64 v1, v[2:3], v[4:5] offset1:1
	s_waitcnt vmcnt(0)
	ds_write2_b64 v1, v[6:7], v[8:9] offset0:2 offset1:3
	s_waitcnt lgkmcnt(0)
	s_barrier
	ds_read_b64 v[0:1], v11
	ds_read_b64 v[2:3], v12 offset:2048
	ds_read_b64 v[4:5], v13 offset:4096
	;; [unrolled: 1-line block ×3, first 2 shown]
	s_waitcnt lgkmcnt(2)
	global_store_dwordx4 v10, v[0:3], s[0:1]
	s_waitcnt lgkmcnt(0)
	global_store_dwordx4 v10, v[4:7], s[0:1] offset:16
	s_endpgm
	.section	.rodata,"a",@progbits
	.p2align	6, 0x0
	.amdhsa_kernel _Z25blocked_to_striped_kernelIxxLj1024ELj4EEvPT_PT0_
		.amdhsa_group_segment_fixed_size 8448
		.amdhsa_private_segment_fixed_size 0
		.amdhsa_kernarg_size 16
		.amdhsa_user_sgpr_count 6
		.amdhsa_user_sgpr_private_segment_buffer 1
		.amdhsa_user_sgpr_dispatch_ptr 0
		.amdhsa_user_sgpr_queue_ptr 0
		.amdhsa_user_sgpr_kernarg_segment_ptr 1
		.amdhsa_user_sgpr_dispatch_id 0
		.amdhsa_user_sgpr_flat_scratch_init 0
		.amdhsa_user_sgpr_kernarg_preload_length 0
		.amdhsa_user_sgpr_kernarg_preload_offset 0
		.amdhsa_user_sgpr_private_segment_size 0
		.amdhsa_uses_dynamic_stack 0
		.amdhsa_system_sgpr_private_segment_wavefront_offset 0
		.amdhsa_system_sgpr_workgroup_id_x 1
		.amdhsa_system_sgpr_workgroup_id_y 0
		.amdhsa_system_sgpr_workgroup_id_z 0
		.amdhsa_system_sgpr_workgroup_info 0
		.amdhsa_system_vgpr_workitem_id 0
		.amdhsa_next_free_vgpr 16
		.amdhsa_next_free_sgpr 7
		.amdhsa_accum_offset 16
		.amdhsa_reserve_vcc 0
		.amdhsa_reserve_flat_scratch 0
		.amdhsa_float_round_mode_32 0
		.amdhsa_float_round_mode_16_64 0
		.amdhsa_float_denorm_mode_32 3
		.amdhsa_float_denorm_mode_16_64 3
		.amdhsa_dx10_clamp 1
		.amdhsa_ieee_mode 1
		.amdhsa_fp16_overflow 0
		.amdhsa_tg_split 0
		.amdhsa_exception_fp_ieee_invalid_op 0
		.amdhsa_exception_fp_denorm_src 0
		.amdhsa_exception_fp_ieee_div_zero 0
		.amdhsa_exception_fp_ieee_overflow 0
		.amdhsa_exception_fp_ieee_underflow 0
		.amdhsa_exception_fp_ieee_inexact 0
		.amdhsa_exception_int_div_zero 0
	.end_amdhsa_kernel
	.section	.text._Z25blocked_to_striped_kernelIxxLj1024ELj4EEvPT_PT0_,"axG",@progbits,_Z25blocked_to_striped_kernelIxxLj1024ELj4EEvPT_PT0_,comdat
.Lfunc_end9:
	.size	_Z25blocked_to_striped_kernelIxxLj1024ELj4EEvPT_PT0_, .Lfunc_end9-_Z25blocked_to_striped_kernelIxxLj1024ELj4EEvPT_PT0_
                                        ; -- End function
	.section	.AMDGPU.csdata,"",@progbits
; Kernel info:
; codeLenInByte = 240
; NumSgprs: 11
; NumVgprs: 16
; NumAgprs: 0
; TotalNumVgprs: 16
; ScratchSize: 0
; MemoryBound: 0
; FloatMode: 240
; IeeeMode: 1
; LDSByteSize: 8448 bytes/workgroup (compile time only)
; SGPRBlocks: 1
; VGPRBlocks: 1
; NumSGPRsForWavesPerEU: 11
; NumVGPRsForWavesPerEU: 16
; AccumOffset: 16
; Occupancy: 8
; WaveLimiterHint : 0
; COMPUTE_PGM_RSRC2:SCRATCH_EN: 0
; COMPUTE_PGM_RSRC2:USER_SGPR: 6
; COMPUTE_PGM_RSRC2:TRAP_HANDLER: 0
; COMPUTE_PGM_RSRC2:TGID_X_EN: 1
; COMPUTE_PGM_RSRC2:TGID_Y_EN: 0
; COMPUTE_PGM_RSRC2:TGID_Z_EN: 0
; COMPUTE_PGM_RSRC2:TIDIG_COMP_CNT: 0
; COMPUTE_PGM_RSRC3_GFX90A:ACCUM_OFFSET: 3
; COMPUTE_PGM_RSRC3_GFX90A:TG_SPLIT: 0
	.section	.text._Z25blocked_to_striped_kernelIiiLj128ELj2EEvPT_PT0_,"axG",@progbits,_Z25blocked_to_striped_kernelIiiLj128ELj2EEvPT_PT0_,comdat
	.protected	_Z25blocked_to_striped_kernelIiiLj128ELj2EEvPT_PT0_ ; -- Begin function _Z25blocked_to_striped_kernelIiiLj128ELj2EEvPT_PT0_
	.globl	_Z25blocked_to_striped_kernelIiiLj128ELj2EEvPT_PT0_
	.p2align	8
	.type	_Z25blocked_to_striped_kernelIiiLj128ELj2EEvPT_PT0_,@function
_Z25blocked_to_striped_kernelIiiLj128ELj2EEvPT_PT0_: ; @_Z25blocked_to_striped_kernelIiiLj128ELj2EEvPT_PT0_
; %bb.0:
	s_load_dwordx4 s[0:3], s[4:5], 0x0
	s_lshl_b32 s4, s6, 7
	s_mov_b32 s5, 0
	s_lshl_b64 s[4:5], s[4:5], 2
	v_lshlrev_b32_e32 v4, 3, v0
	s_waitcnt lgkmcnt(0)
	s_add_u32 s0, s0, s4
	s_addc_u32 s1, s1, s5
	global_load_dwordx2 v[2:3], v4, s[0:1]
	v_lshlrev_b32_e32 v1, 1, v0
	v_lshrrev_b32_e32 v5, 4, v0
	v_lshrrev_b32_e32 v6, 5, v0
	v_add_u32_e32 v7, 64, v0
	v_add_lshl_u32 v1, v5, v1, 2
	v_add_lshl_u32 v5, v6, v0, 2
	v_lshrrev_b32_e32 v6, 5, v7
	v_add_lshl_u32 v6, v6, v0, 2
	s_add_u32 s0, s2, s4
	s_addc_u32 s1, s3, s5
	s_waitcnt vmcnt(0)
	ds_write2_b32 v1, v2, v3 offset1:1
	s_waitcnt lgkmcnt(0)
	s_barrier
	ds_read_b32 v0, v5
	ds_read_b32 v1, v6 offset:256
	s_waitcnt lgkmcnt(0)
	global_store_dwordx2 v4, v[0:1], s[0:1]
	s_endpgm
	.section	.rodata,"a",@progbits
	.p2align	6, 0x0
	.amdhsa_kernel _Z25blocked_to_striped_kernelIiiLj128ELj2EEvPT_PT0_
		.amdhsa_group_segment_fixed_size 528
		.amdhsa_private_segment_fixed_size 0
		.amdhsa_kernarg_size 16
		.amdhsa_user_sgpr_count 6
		.amdhsa_user_sgpr_private_segment_buffer 1
		.amdhsa_user_sgpr_dispatch_ptr 0
		.amdhsa_user_sgpr_queue_ptr 0
		.amdhsa_user_sgpr_kernarg_segment_ptr 1
		.amdhsa_user_sgpr_dispatch_id 0
		.amdhsa_user_sgpr_flat_scratch_init 0
		.amdhsa_user_sgpr_kernarg_preload_length 0
		.amdhsa_user_sgpr_kernarg_preload_offset 0
		.amdhsa_user_sgpr_private_segment_size 0
		.amdhsa_uses_dynamic_stack 0
		.amdhsa_system_sgpr_private_segment_wavefront_offset 0
		.amdhsa_system_sgpr_workgroup_id_x 1
		.amdhsa_system_sgpr_workgroup_id_y 0
		.amdhsa_system_sgpr_workgroup_id_z 0
		.amdhsa_system_sgpr_workgroup_info 0
		.amdhsa_system_vgpr_workitem_id 0
		.amdhsa_next_free_vgpr 8
		.amdhsa_next_free_sgpr 7
		.amdhsa_accum_offset 8
		.amdhsa_reserve_vcc 0
		.amdhsa_reserve_flat_scratch 0
		.amdhsa_float_round_mode_32 0
		.amdhsa_float_round_mode_16_64 0
		.amdhsa_float_denorm_mode_32 3
		.amdhsa_float_denorm_mode_16_64 3
		.amdhsa_dx10_clamp 1
		.amdhsa_ieee_mode 1
		.amdhsa_fp16_overflow 0
		.amdhsa_tg_split 0
		.amdhsa_exception_fp_ieee_invalid_op 0
		.amdhsa_exception_fp_denorm_src 0
		.amdhsa_exception_fp_ieee_div_zero 0
		.amdhsa_exception_fp_ieee_overflow 0
		.amdhsa_exception_fp_ieee_underflow 0
		.amdhsa_exception_fp_ieee_inexact 0
		.amdhsa_exception_int_div_zero 0
	.end_amdhsa_kernel
	.section	.text._Z25blocked_to_striped_kernelIiiLj128ELj2EEvPT_PT0_,"axG",@progbits,_Z25blocked_to_striped_kernelIiiLj128ELj2EEvPT_PT0_,comdat
.Lfunc_end10:
	.size	_Z25blocked_to_striped_kernelIiiLj128ELj2EEvPT_PT0_, .Lfunc_end10-_Z25blocked_to_striped_kernelIiiLj128ELj2EEvPT_PT0_
                                        ; -- End function
	.section	.AMDGPU.csdata,"",@progbits
; Kernel info:
; codeLenInByte = 148
; NumSgprs: 11
; NumVgprs: 8
; NumAgprs: 0
; TotalNumVgprs: 8
; ScratchSize: 0
; MemoryBound: 0
; FloatMode: 240
; IeeeMode: 1
; LDSByteSize: 528 bytes/workgroup (compile time only)
; SGPRBlocks: 1
; VGPRBlocks: 0
; NumSGPRsForWavesPerEU: 11
; NumVGPRsForWavesPerEU: 8
; AccumOffset: 8
; Occupancy: 8
; WaveLimiterHint : 0
; COMPUTE_PGM_RSRC2:SCRATCH_EN: 0
; COMPUTE_PGM_RSRC2:USER_SGPR: 6
; COMPUTE_PGM_RSRC2:TRAP_HANDLER: 0
; COMPUTE_PGM_RSRC2:TGID_X_EN: 1
; COMPUTE_PGM_RSRC2:TGID_Y_EN: 0
; COMPUTE_PGM_RSRC2:TGID_Z_EN: 0
; COMPUTE_PGM_RSRC2:TIDIG_COMP_CNT: 0
; COMPUTE_PGM_RSRC3_GFX90A:ACCUM_OFFSET: 1
; COMPUTE_PGM_RSRC3_GFX90A:TG_SPLIT: 0
	.section	.text._Z25blocked_to_striped_kernelIxxLj512ELj1EEvPT_PT0_,"axG",@progbits,_Z25blocked_to_striped_kernelIxxLj512ELj1EEvPT_PT0_,comdat
	.protected	_Z25blocked_to_striped_kernelIxxLj512ELj1EEvPT_PT0_ ; -- Begin function _Z25blocked_to_striped_kernelIxxLj512ELj1EEvPT_PT0_
	.globl	_Z25blocked_to_striped_kernelIxxLj512ELj1EEvPT_PT0_
	.p2align	8
	.type	_Z25blocked_to_striped_kernelIxxLj512ELj1EEvPT_PT0_,@function
_Z25blocked_to_striped_kernelIxxLj512ELj1EEvPT_PT0_: ; @_Z25blocked_to_striped_kernelIxxLj512ELj1EEvPT_PT0_
; %bb.0:
	s_load_dwordx4 s[0:3], s[4:5], 0x0
	s_lshl_b32 s4, s6, 9
	s_mov_b32 s5, 0
	s_lshl_b64 s[4:5], s[4:5], 3
	v_lshlrev_b32_e32 v2, 3, v0
	s_waitcnt lgkmcnt(0)
	s_add_u32 s0, s0, s4
	s_addc_u32 s1, s1, s5
	global_load_dwordx2 v[0:1], v2, s[0:1]
	s_add_u32 s0, s2, s4
	s_addc_u32 s1, s3, s5
	s_waitcnt vmcnt(0)
	ds_write_b64 v2, v[0:1]
	s_waitcnt lgkmcnt(0)
	s_barrier
	ds_read_b64 v[0:1], v2
	s_waitcnt lgkmcnt(0)
	global_store_dwordx2 v2, v[0:1], s[0:1]
	s_endpgm
	.section	.rodata,"a",@progbits
	.p2align	6, 0x0
	.amdhsa_kernel _Z25blocked_to_striped_kernelIxxLj512ELj1EEvPT_PT0_
		.amdhsa_group_segment_fixed_size 4096
		.amdhsa_private_segment_fixed_size 0
		.amdhsa_kernarg_size 16
		.amdhsa_user_sgpr_count 6
		.amdhsa_user_sgpr_private_segment_buffer 1
		.amdhsa_user_sgpr_dispatch_ptr 0
		.amdhsa_user_sgpr_queue_ptr 0
		.amdhsa_user_sgpr_kernarg_segment_ptr 1
		.amdhsa_user_sgpr_dispatch_id 0
		.amdhsa_user_sgpr_flat_scratch_init 0
		.amdhsa_user_sgpr_kernarg_preload_length 0
		.amdhsa_user_sgpr_kernarg_preload_offset 0
		.amdhsa_user_sgpr_private_segment_size 0
		.amdhsa_uses_dynamic_stack 0
		.amdhsa_system_sgpr_private_segment_wavefront_offset 0
		.amdhsa_system_sgpr_workgroup_id_x 1
		.amdhsa_system_sgpr_workgroup_id_y 0
		.amdhsa_system_sgpr_workgroup_id_z 0
		.amdhsa_system_sgpr_workgroup_info 0
		.amdhsa_system_vgpr_workitem_id 0
		.amdhsa_next_free_vgpr 3
		.amdhsa_next_free_sgpr 7
		.amdhsa_accum_offset 4
		.amdhsa_reserve_vcc 0
		.amdhsa_reserve_flat_scratch 0
		.amdhsa_float_round_mode_32 0
		.amdhsa_float_round_mode_16_64 0
		.amdhsa_float_denorm_mode_32 3
		.amdhsa_float_denorm_mode_16_64 3
		.amdhsa_dx10_clamp 1
		.amdhsa_ieee_mode 1
		.amdhsa_fp16_overflow 0
		.amdhsa_tg_split 0
		.amdhsa_exception_fp_ieee_invalid_op 0
		.amdhsa_exception_fp_denorm_src 0
		.amdhsa_exception_fp_ieee_div_zero 0
		.amdhsa_exception_fp_ieee_overflow 0
		.amdhsa_exception_fp_ieee_underflow 0
		.amdhsa_exception_fp_ieee_inexact 0
		.amdhsa_exception_int_div_zero 0
	.end_amdhsa_kernel
	.section	.text._Z25blocked_to_striped_kernelIxxLj512ELj1EEvPT_PT0_,"axG",@progbits,_Z25blocked_to_striped_kernelIxxLj512ELj1EEvPT_PT0_,comdat
.Lfunc_end11:
	.size	_Z25blocked_to_striped_kernelIxxLj512ELj1EEvPT_PT0_, .Lfunc_end11-_Z25blocked_to_striped_kernelIxxLj512ELj1EEvPT_PT0_
                                        ; -- End function
	.section	.AMDGPU.csdata,"",@progbits
; Kernel info:
; codeLenInByte = 96
; NumSgprs: 11
; NumVgprs: 3
; NumAgprs: 0
; TotalNumVgprs: 3
; ScratchSize: 0
; MemoryBound: 0
; FloatMode: 240
; IeeeMode: 1
; LDSByteSize: 4096 bytes/workgroup (compile time only)
; SGPRBlocks: 1
; VGPRBlocks: 0
; NumSGPRsForWavesPerEU: 11
; NumVGPRsForWavesPerEU: 3
; AccumOffset: 4
; Occupancy: 8
; WaveLimiterHint : 0
; COMPUTE_PGM_RSRC2:SCRATCH_EN: 0
; COMPUTE_PGM_RSRC2:USER_SGPR: 6
; COMPUTE_PGM_RSRC2:TRAP_HANDLER: 0
; COMPUTE_PGM_RSRC2:TGID_X_EN: 1
; COMPUTE_PGM_RSRC2:TGID_Y_EN: 0
; COMPUTE_PGM_RSRC2:TGID_Z_EN: 0
; COMPUTE_PGM_RSRC2:TIDIG_COMP_CNT: 0
; COMPUTE_PGM_RSRC3_GFX90A:ACCUM_OFFSET: 0
; COMPUTE_PGM_RSRC3_GFX90A:TG_SPLIT: 0
	.section	.text._Z25blocked_to_striped_kernelIs5dummyIiELj256ELj1EEvPT_PT0_,"axG",@progbits,_Z25blocked_to_striped_kernelIs5dummyIiELj256ELj1EEvPT_PT0_,comdat
	.protected	_Z25blocked_to_striped_kernelIs5dummyIiELj256ELj1EEvPT_PT0_ ; -- Begin function _Z25blocked_to_striped_kernelIs5dummyIiELj256ELj1EEvPT_PT0_
	.globl	_Z25blocked_to_striped_kernelIs5dummyIiELj256ELj1EEvPT_PT0_
	.p2align	8
	.type	_Z25blocked_to_striped_kernelIs5dummyIiELj256ELj1EEvPT_PT0_,@function
_Z25blocked_to_striped_kernelIs5dummyIiELj256ELj1EEvPT_PT0_: ; @_Z25blocked_to_striped_kernelIs5dummyIiELj256ELj1EEvPT_PT0_
; %bb.0:
	s_load_dwordx4 s[0:3], s[4:5], 0x0
	s_lshl_b32 s4, s6, 8
	s_mov_b32 s5, 0
	s_lshl_b64 s[6:7], s[4:5], 1
	v_lshlrev_b32_e32 v1, 1, v0
	s_waitcnt lgkmcnt(0)
	s_add_u32 s0, s0, s6
	s_addc_u32 s1, s1, s7
	global_load_ushort v2, v1, s[0:1]
	s_lshl_b64 s[0:1], s[4:5], 3
	s_add_u32 s0, s2, s0
	s_addc_u32 s1, s3, s1
	v_lshlrev_b32_e32 v0, 3, v0
	s_waitcnt vmcnt(0)
	ds_write_b16 v1, v2
	s_waitcnt lgkmcnt(0)
	s_barrier
	ds_read_i16 v1, v1
	s_waitcnt lgkmcnt(0)
	v_lshlrev_b32_e32 v3, 1, v1
	v_add_u32_e32 v2, 1, v1
	global_store_dwordx2 v0, v[2:3], s[0:1]
	s_endpgm
	.section	.rodata,"a",@progbits
	.p2align	6, 0x0
	.amdhsa_kernel _Z25blocked_to_striped_kernelIs5dummyIiELj256ELj1EEvPT_PT0_
		.amdhsa_group_segment_fixed_size 512
		.amdhsa_private_segment_fixed_size 0
		.amdhsa_kernarg_size 16
		.amdhsa_user_sgpr_count 6
		.amdhsa_user_sgpr_private_segment_buffer 1
		.amdhsa_user_sgpr_dispatch_ptr 0
		.amdhsa_user_sgpr_queue_ptr 0
		.amdhsa_user_sgpr_kernarg_segment_ptr 1
		.amdhsa_user_sgpr_dispatch_id 0
		.amdhsa_user_sgpr_flat_scratch_init 0
		.amdhsa_user_sgpr_kernarg_preload_length 0
		.amdhsa_user_sgpr_kernarg_preload_offset 0
		.amdhsa_user_sgpr_private_segment_size 0
		.amdhsa_uses_dynamic_stack 0
		.amdhsa_system_sgpr_private_segment_wavefront_offset 0
		.amdhsa_system_sgpr_workgroup_id_x 1
		.amdhsa_system_sgpr_workgroup_id_y 0
		.amdhsa_system_sgpr_workgroup_id_z 0
		.amdhsa_system_sgpr_workgroup_info 0
		.amdhsa_system_vgpr_workitem_id 0
		.amdhsa_next_free_vgpr 4
		.amdhsa_next_free_sgpr 8
		.amdhsa_accum_offset 4
		.amdhsa_reserve_vcc 0
		.amdhsa_reserve_flat_scratch 0
		.amdhsa_float_round_mode_32 0
		.amdhsa_float_round_mode_16_64 0
		.amdhsa_float_denorm_mode_32 3
		.amdhsa_float_denorm_mode_16_64 3
		.amdhsa_dx10_clamp 1
		.amdhsa_ieee_mode 1
		.amdhsa_fp16_overflow 0
		.amdhsa_tg_split 0
		.amdhsa_exception_fp_ieee_invalid_op 0
		.amdhsa_exception_fp_denorm_src 0
		.amdhsa_exception_fp_ieee_div_zero 0
		.amdhsa_exception_fp_ieee_overflow 0
		.amdhsa_exception_fp_ieee_underflow 0
		.amdhsa_exception_fp_ieee_inexact 0
		.amdhsa_exception_int_div_zero 0
	.end_amdhsa_kernel
	.section	.text._Z25blocked_to_striped_kernelIs5dummyIiELj256ELj1EEvPT_PT0_,"axG",@progbits,_Z25blocked_to_striped_kernelIs5dummyIiELj256ELj1EEvPT_PT0_,comdat
.Lfunc_end12:
	.size	_Z25blocked_to_striped_kernelIs5dummyIiELj256ELj1EEvPT_PT0_, .Lfunc_end12-_Z25blocked_to_striped_kernelIs5dummyIiELj256ELj1EEvPT_PT0_
                                        ; -- End function
	.section	.AMDGPU.csdata,"",@progbits
; Kernel info:
; codeLenInByte = 112
; NumSgprs: 12
; NumVgprs: 4
; NumAgprs: 0
; TotalNumVgprs: 4
; ScratchSize: 0
; MemoryBound: 0
; FloatMode: 240
; IeeeMode: 1
; LDSByteSize: 512 bytes/workgroup (compile time only)
; SGPRBlocks: 1
; VGPRBlocks: 0
; NumSGPRsForWavesPerEU: 12
; NumVGPRsForWavesPerEU: 4
; AccumOffset: 4
; Occupancy: 8
; WaveLimiterHint : 0
; COMPUTE_PGM_RSRC2:SCRATCH_EN: 0
; COMPUTE_PGM_RSRC2:USER_SGPR: 6
; COMPUTE_PGM_RSRC2:TRAP_HANDLER: 0
; COMPUTE_PGM_RSRC2:TGID_X_EN: 1
; COMPUTE_PGM_RSRC2:TGID_Y_EN: 0
; COMPUTE_PGM_RSRC2:TGID_Z_EN: 0
; COMPUTE_PGM_RSRC2:TIDIG_COMP_CNT: 0
; COMPUTE_PGM_RSRC3_GFX90A:ACCUM_OFFSET: 0
; COMPUTE_PGM_RSRC3_GFX90A:TG_SPLIT: 0
	.section	.text._Z25blocked_to_striped_kernelIyyLj128ELj1EEvPT_PT0_,"axG",@progbits,_Z25blocked_to_striped_kernelIyyLj128ELj1EEvPT_PT0_,comdat
	.protected	_Z25blocked_to_striped_kernelIyyLj128ELj1EEvPT_PT0_ ; -- Begin function _Z25blocked_to_striped_kernelIyyLj128ELj1EEvPT_PT0_
	.globl	_Z25blocked_to_striped_kernelIyyLj128ELj1EEvPT_PT0_
	.p2align	8
	.type	_Z25blocked_to_striped_kernelIyyLj128ELj1EEvPT_PT0_,@function
_Z25blocked_to_striped_kernelIyyLj128ELj1EEvPT_PT0_: ; @_Z25blocked_to_striped_kernelIyyLj128ELj1EEvPT_PT0_
; %bb.0:
	s_load_dwordx4 s[0:3], s[4:5], 0x0
	s_lshl_b32 s4, s6, 7
	s_mov_b32 s5, 0
	s_lshl_b64 s[4:5], s[4:5], 3
	v_lshlrev_b32_e32 v2, 3, v0
	s_waitcnt lgkmcnt(0)
	s_add_u32 s0, s0, s4
	s_addc_u32 s1, s1, s5
	global_load_dwordx2 v[0:1], v2, s[0:1]
	s_add_u32 s0, s2, s4
	s_addc_u32 s1, s3, s5
	s_waitcnt vmcnt(0)
	ds_write_b64 v2, v[0:1]
	s_waitcnt lgkmcnt(0)
	s_barrier
	ds_read_b64 v[0:1], v2
	s_waitcnt lgkmcnt(0)
	global_store_dwordx2 v2, v[0:1], s[0:1]
	s_endpgm
	.section	.rodata,"a",@progbits
	.p2align	6, 0x0
	.amdhsa_kernel _Z25blocked_to_striped_kernelIyyLj128ELj1EEvPT_PT0_
		.amdhsa_group_segment_fixed_size 1024
		.amdhsa_private_segment_fixed_size 0
		.amdhsa_kernarg_size 16
		.amdhsa_user_sgpr_count 6
		.amdhsa_user_sgpr_private_segment_buffer 1
		.amdhsa_user_sgpr_dispatch_ptr 0
		.amdhsa_user_sgpr_queue_ptr 0
		.amdhsa_user_sgpr_kernarg_segment_ptr 1
		.amdhsa_user_sgpr_dispatch_id 0
		.amdhsa_user_sgpr_flat_scratch_init 0
		.amdhsa_user_sgpr_kernarg_preload_length 0
		.amdhsa_user_sgpr_kernarg_preload_offset 0
		.amdhsa_user_sgpr_private_segment_size 0
		.amdhsa_uses_dynamic_stack 0
		.amdhsa_system_sgpr_private_segment_wavefront_offset 0
		.amdhsa_system_sgpr_workgroup_id_x 1
		.amdhsa_system_sgpr_workgroup_id_y 0
		.amdhsa_system_sgpr_workgroup_id_z 0
		.amdhsa_system_sgpr_workgroup_info 0
		.amdhsa_system_vgpr_workitem_id 0
		.amdhsa_next_free_vgpr 3
		.amdhsa_next_free_sgpr 7
		.amdhsa_accum_offset 4
		.amdhsa_reserve_vcc 0
		.amdhsa_reserve_flat_scratch 0
		.amdhsa_float_round_mode_32 0
		.amdhsa_float_round_mode_16_64 0
		.amdhsa_float_denorm_mode_32 3
		.amdhsa_float_denorm_mode_16_64 3
		.amdhsa_dx10_clamp 1
		.amdhsa_ieee_mode 1
		.amdhsa_fp16_overflow 0
		.amdhsa_tg_split 0
		.amdhsa_exception_fp_ieee_invalid_op 0
		.amdhsa_exception_fp_denorm_src 0
		.amdhsa_exception_fp_ieee_div_zero 0
		.amdhsa_exception_fp_ieee_overflow 0
		.amdhsa_exception_fp_ieee_underflow 0
		.amdhsa_exception_fp_ieee_inexact 0
		.amdhsa_exception_int_div_zero 0
	.end_amdhsa_kernel
	.section	.text._Z25blocked_to_striped_kernelIyyLj128ELj1EEvPT_PT0_,"axG",@progbits,_Z25blocked_to_striped_kernelIyyLj128ELj1EEvPT_PT0_,comdat
.Lfunc_end13:
	.size	_Z25blocked_to_striped_kernelIyyLj128ELj1EEvPT_PT0_, .Lfunc_end13-_Z25blocked_to_striped_kernelIyyLj128ELj1EEvPT_PT0_
                                        ; -- End function
	.section	.AMDGPU.csdata,"",@progbits
; Kernel info:
; codeLenInByte = 96
; NumSgprs: 11
; NumVgprs: 3
; NumAgprs: 0
; TotalNumVgprs: 3
; ScratchSize: 0
; MemoryBound: 0
; FloatMode: 240
; IeeeMode: 1
; LDSByteSize: 1024 bytes/workgroup (compile time only)
; SGPRBlocks: 1
; VGPRBlocks: 0
; NumSGPRsForWavesPerEU: 11
; NumVGPRsForWavesPerEU: 3
; AccumOffset: 4
; Occupancy: 8
; WaveLimiterHint : 0
; COMPUTE_PGM_RSRC2:SCRATCH_EN: 0
; COMPUTE_PGM_RSRC2:USER_SGPR: 6
; COMPUTE_PGM_RSRC2:TRAP_HANDLER: 0
; COMPUTE_PGM_RSRC2:TGID_X_EN: 1
; COMPUTE_PGM_RSRC2:TGID_Y_EN: 0
; COMPUTE_PGM_RSRC2:TGID_Z_EN: 0
; COMPUTE_PGM_RSRC2:TIDIG_COMP_CNT: 0
; COMPUTE_PGM_RSRC3_GFX90A:ACCUM_OFFSET: 0
; COMPUTE_PGM_RSRC3_GFX90A:TG_SPLIT: 0
	.section	.text._Z25blocked_to_striped_kernelIixLj64ELj1EEvPT_PT0_,"axG",@progbits,_Z25blocked_to_striped_kernelIixLj64ELj1EEvPT_PT0_,comdat
	.protected	_Z25blocked_to_striped_kernelIixLj64ELj1EEvPT_PT0_ ; -- Begin function _Z25blocked_to_striped_kernelIixLj64ELj1EEvPT_PT0_
	.globl	_Z25blocked_to_striped_kernelIixLj64ELj1EEvPT_PT0_
	.p2align	8
	.type	_Z25blocked_to_striped_kernelIixLj64ELj1EEvPT_PT0_,@function
_Z25blocked_to_striped_kernelIixLj64ELj1EEvPT_PT0_: ; @_Z25blocked_to_striped_kernelIixLj64ELj1EEvPT_PT0_
; %bb.0:
	s_load_dwordx4 s[0:3], s[4:5], 0x0
	s_lshl_b32 s4, s6, 6
	s_mov_b32 s5, 0
	s_lshl_b64 s[6:7], s[4:5], 2
	v_lshlrev_b32_e32 v1, 2, v0
	s_waitcnt lgkmcnt(0)
	s_add_u32 s0, s0, s6
	s_addc_u32 s1, s1, s7
	global_load_dword v2, v1, s[0:1]
	s_lshl_b64 s[0:1], s[4:5], 3
	s_add_u32 s0, s2, s0
	s_addc_u32 s1, s3, s1
	v_lshlrev_b32_e32 v0, 3, v0
	s_waitcnt vmcnt(0)
	ds_write_b32 v1, v2
	s_waitcnt lgkmcnt(0)
	s_barrier
	ds_read_b32 v2, v1
	s_waitcnt lgkmcnt(0)
	v_ashrrev_i32_e32 v3, 31, v2
	global_store_dwordx2 v0, v[2:3], s[0:1]
	s_endpgm
	.section	.rodata,"a",@progbits
	.p2align	6, 0x0
	.amdhsa_kernel _Z25blocked_to_striped_kernelIixLj64ELj1EEvPT_PT0_
		.amdhsa_group_segment_fixed_size 256
		.amdhsa_private_segment_fixed_size 0
		.amdhsa_kernarg_size 16
		.amdhsa_user_sgpr_count 6
		.amdhsa_user_sgpr_private_segment_buffer 1
		.amdhsa_user_sgpr_dispatch_ptr 0
		.amdhsa_user_sgpr_queue_ptr 0
		.amdhsa_user_sgpr_kernarg_segment_ptr 1
		.amdhsa_user_sgpr_dispatch_id 0
		.amdhsa_user_sgpr_flat_scratch_init 0
		.amdhsa_user_sgpr_kernarg_preload_length 0
		.amdhsa_user_sgpr_kernarg_preload_offset 0
		.amdhsa_user_sgpr_private_segment_size 0
		.amdhsa_uses_dynamic_stack 0
		.amdhsa_system_sgpr_private_segment_wavefront_offset 0
		.amdhsa_system_sgpr_workgroup_id_x 1
		.amdhsa_system_sgpr_workgroup_id_y 0
		.amdhsa_system_sgpr_workgroup_id_z 0
		.amdhsa_system_sgpr_workgroup_info 0
		.amdhsa_system_vgpr_workitem_id 0
		.amdhsa_next_free_vgpr 4
		.amdhsa_next_free_sgpr 8
		.amdhsa_accum_offset 4
		.amdhsa_reserve_vcc 0
		.amdhsa_reserve_flat_scratch 0
		.amdhsa_float_round_mode_32 0
		.amdhsa_float_round_mode_16_64 0
		.amdhsa_float_denorm_mode_32 3
		.amdhsa_float_denorm_mode_16_64 3
		.amdhsa_dx10_clamp 1
		.amdhsa_ieee_mode 1
		.amdhsa_fp16_overflow 0
		.amdhsa_tg_split 0
		.amdhsa_exception_fp_ieee_invalid_op 0
		.amdhsa_exception_fp_denorm_src 0
		.amdhsa_exception_fp_ieee_div_zero 0
		.amdhsa_exception_fp_ieee_overflow 0
		.amdhsa_exception_fp_ieee_underflow 0
		.amdhsa_exception_fp_ieee_inexact 0
		.amdhsa_exception_int_div_zero 0
	.end_amdhsa_kernel
	.section	.text._Z25blocked_to_striped_kernelIixLj64ELj1EEvPT_PT0_,"axG",@progbits,_Z25blocked_to_striped_kernelIixLj64ELj1EEvPT_PT0_,comdat
.Lfunc_end14:
	.size	_Z25blocked_to_striped_kernelIixLj64ELj1EEvPT_PT0_, .Lfunc_end14-_Z25blocked_to_striped_kernelIixLj64ELj1EEvPT_PT0_
                                        ; -- End function
	.section	.AMDGPU.csdata,"",@progbits
; Kernel info:
; codeLenInByte = 108
; NumSgprs: 12
; NumVgprs: 4
; NumAgprs: 0
; TotalNumVgprs: 4
; ScratchSize: 0
; MemoryBound: 0
; FloatMode: 240
; IeeeMode: 1
; LDSByteSize: 256 bytes/workgroup (compile time only)
; SGPRBlocks: 1
; VGPRBlocks: 0
; NumSGPRsForWavesPerEU: 12
; NumVGPRsForWavesPerEU: 4
; AccumOffset: 4
; Occupancy: 8
; WaveLimiterHint : 0
; COMPUTE_PGM_RSRC2:SCRATCH_EN: 0
; COMPUTE_PGM_RSRC2:USER_SGPR: 6
; COMPUTE_PGM_RSRC2:TRAP_HANDLER: 0
; COMPUTE_PGM_RSRC2:TGID_X_EN: 1
; COMPUTE_PGM_RSRC2:TGID_Y_EN: 0
; COMPUTE_PGM_RSRC2:TGID_Z_EN: 0
; COMPUTE_PGM_RSRC2:TIDIG_COMP_CNT: 0
; COMPUTE_PGM_RSRC3_GFX90A:ACCUM_OFFSET: 0
; COMPUTE_PGM_RSRC3_GFX90A:TG_SPLIT: 0
	.section	.text._Z25blocked_to_striped_kernelI6__halfS0_Lj512ELj4EEvPT_PT0_,"axG",@progbits,_Z25blocked_to_striped_kernelI6__halfS0_Lj512ELj4EEvPT_PT0_,comdat
	.protected	_Z25blocked_to_striped_kernelI6__halfS0_Lj512ELj4EEvPT_PT0_ ; -- Begin function _Z25blocked_to_striped_kernelI6__halfS0_Lj512ELj4EEvPT_PT0_
	.globl	_Z25blocked_to_striped_kernelI6__halfS0_Lj512ELj4EEvPT_PT0_
	.p2align	8
	.type	_Z25blocked_to_striped_kernelI6__halfS0_Lj512ELj4EEvPT_PT0_,@function
_Z25blocked_to_striped_kernelI6__halfS0_Lj512ELj4EEvPT_PT0_: ; @_Z25blocked_to_striped_kernelI6__halfS0_Lj512ELj4EEvPT_PT0_
; %bb.0:
	s_load_dwordx4 s[0:3], s[4:5], 0x0
	s_lshl_b32 s4, s6, 9
	s_mov_b32 s5, 0
	s_lshl_b64 s[4:5], s[4:5], 1
	v_lshlrev_b32_e32 v4, 3, v0
	s_waitcnt lgkmcnt(0)
	s_add_u32 s0, s0, s4
	s_addc_u32 s1, s1, s5
	global_load_dwordx2 v[2:3], v4, s[0:1]
	v_lshrrev_b32_e32 v5, 3, v0
	v_lshrrev_b32_e32 v6, 5, v0
	v_add_u32_e32 v7, 0x80, v0
	v_add_u32_e32 v8, 0x100, v0
	;; [unrolled: 1-line block ×3, first 2 shown]
	v_lshlrev_b32_e32 v1, 2, v0
	v_and_b32_e32 v5, 62, v5
	v_and_b32_e32 v6, 14, v6
	v_lshrrev_b32_e32 v7, 5, v7
	v_lshrrev_b32_e32 v8, 5, v8
	;; [unrolled: 1-line block ×3, first 2 shown]
	v_add_lshl_u32 v1, v5, v1, 1
	v_add_lshl_u32 v5, v6, v0, 1
	v_and_b32_e32 v6, 30, v7
	v_and_b32_e32 v7, 30, v8
	;; [unrolled: 1-line block ×3, first 2 shown]
	v_add_lshl_u32 v6, v6, v0, 1
	v_add_lshl_u32 v7, v7, v0, 1
	v_add_lshl_u32 v0, v8, v0, 1
	s_mov_b32 s6, 0x5040100
	s_add_u32 s0, s2, s4
	s_addc_u32 s1, s3, s5
	s_waitcnt vmcnt(0)
	ds_write_b64 v1, v[2:3]
	s_waitcnt lgkmcnt(0)
	s_barrier
	ds_read_u16 v1, v7 offset:512
	ds_read_u16 v0, v0 offset:768
	ds_read_u16 v2, v5
	ds_read_u16 v3, v6 offset:256
	s_waitcnt lgkmcnt(2)
	v_perm_b32 v1, v0, v1, s6
	s_waitcnt lgkmcnt(0)
	v_perm_b32 v0, v3, v2, s6
	global_store_dwordx2 v4, v[0:1], s[0:1]
	s_endpgm
	.section	.rodata,"a",@progbits
	.p2align	6, 0x0
	.amdhsa_kernel _Z25blocked_to_striped_kernelI6__halfS0_Lj512ELj4EEvPT_PT0_
		.amdhsa_group_segment_fixed_size 1056
		.amdhsa_private_segment_fixed_size 0
		.amdhsa_kernarg_size 16
		.amdhsa_user_sgpr_count 6
		.amdhsa_user_sgpr_private_segment_buffer 1
		.amdhsa_user_sgpr_dispatch_ptr 0
		.amdhsa_user_sgpr_queue_ptr 0
		.amdhsa_user_sgpr_kernarg_segment_ptr 1
		.amdhsa_user_sgpr_dispatch_id 0
		.amdhsa_user_sgpr_flat_scratch_init 0
		.amdhsa_user_sgpr_kernarg_preload_length 0
		.amdhsa_user_sgpr_kernarg_preload_offset 0
		.amdhsa_user_sgpr_private_segment_size 0
		.amdhsa_uses_dynamic_stack 0
		.amdhsa_system_sgpr_private_segment_wavefront_offset 0
		.amdhsa_system_sgpr_workgroup_id_x 1
		.amdhsa_system_sgpr_workgroup_id_y 0
		.amdhsa_system_sgpr_workgroup_id_z 0
		.amdhsa_system_sgpr_workgroup_info 0
		.amdhsa_system_vgpr_workitem_id 0
		.amdhsa_next_free_vgpr 10
		.amdhsa_next_free_sgpr 7
		.amdhsa_accum_offset 12
		.amdhsa_reserve_vcc 0
		.amdhsa_reserve_flat_scratch 0
		.amdhsa_float_round_mode_32 0
		.amdhsa_float_round_mode_16_64 0
		.amdhsa_float_denorm_mode_32 3
		.amdhsa_float_denorm_mode_16_64 3
		.amdhsa_dx10_clamp 1
		.amdhsa_ieee_mode 1
		.amdhsa_fp16_overflow 0
		.amdhsa_tg_split 0
		.amdhsa_exception_fp_ieee_invalid_op 0
		.amdhsa_exception_fp_denorm_src 0
		.amdhsa_exception_fp_ieee_div_zero 0
		.amdhsa_exception_fp_ieee_overflow 0
		.amdhsa_exception_fp_ieee_underflow 0
		.amdhsa_exception_fp_ieee_inexact 0
		.amdhsa_exception_int_div_zero 0
	.end_amdhsa_kernel
	.section	.text._Z25blocked_to_striped_kernelI6__halfS0_Lj512ELj4EEvPT_PT0_,"axG",@progbits,_Z25blocked_to_striped_kernelI6__halfS0_Lj512ELj4EEvPT_PT0_,comdat
.Lfunc_end15:
	.size	_Z25blocked_to_striped_kernelI6__halfS0_Lj512ELj4EEvPT_PT0_, .Lfunc_end15-_Z25blocked_to_striped_kernelI6__halfS0_Lj512ELj4EEvPT_PT0_
                                        ; -- End function
	.section	.AMDGPU.csdata,"",@progbits
; Kernel info:
; codeLenInByte = 256
; NumSgprs: 11
; NumVgprs: 10
; NumAgprs: 0
; TotalNumVgprs: 10
; ScratchSize: 0
; MemoryBound: 0
; FloatMode: 240
; IeeeMode: 1
; LDSByteSize: 1056 bytes/workgroup (compile time only)
; SGPRBlocks: 1
; VGPRBlocks: 1
; NumSGPRsForWavesPerEU: 11
; NumVGPRsForWavesPerEU: 10
; AccumOffset: 12
; Occupancy: 8
; WaveLimiterHint : 0
; COMPUTE_PGM_RSRC2:SCRATCH_EN: 0
; COMPUTE_PGM_RSRC2:USER_SGPR: 6
; COMPUTE_PGM_RSRC2:TRAP_HANDLER: 0
; COMPUTE_PGM_RSRC2:TGID_X_EN: 1
; COMPUTE_PGM_RSRC2:TGID_Y_EN: 0
; COMPUTE_PGM_RSRC2:TGID_Z_EN: 0
; COMPUTE_PGM_RSRC2:TIDIG_COMP_CNT: 0
; COMPUTE_PGM_RSRC3_GFX90A:ACCUM_OFFSET: 2
; COMPUTE_PGM_RSRC3_GFX90A:TG_SPLIT: 0
	.section	.text._Z25blocked_to_striped_kernelI12hip_bfloat16S0_Lj512ELj4EEvPT_PT0_,"axG",@progbits,_Z25blocked_to_striped_kernelI12hip_bfloat16S0_Lj512ELj4EEvPT_PT0_,comdat
	.protected	_Z25blocked_to_striped_kernelI12hip_bfloat16S0_Lj512ELj4EEvPT_PT0_ ; -- Begin function _Z25blocked_to_striped_kernelI12hip_bfloat16S0_Lj512ELj4EEvPT_PT0_
	.globl	_Z25blocked_to_striped_kernelI12hip_bfloat16S0_Lj512ELj4EEvPT_PT0_
	.p2align	8
	.type	_Z25blocked_to_striped_kernelI12hip_bfloat16S0_Lj512ELj4EEvPT_PT0_,@function
_Z25blocked_to_striped_kernelI12hip_bfloat16S0_Lj512ELj4EEvPT_PT0_: ; @_Z25blocked_to_striped_kernelI12hip_bfloat16S0_Lj512ELj4EEvPT_PT0_
; %bb.0:
	s_load_dwordx4 s[0:3], s[4:5], 0x0
	s_lshl_b32 s4, s6, 9
	s_mov_b32 s5, 0
	s_lshl_b64 s[4:5], s[4:5], 1
	v_lshlrev_b32_e32 v4, 3, v0
	s_waitcnt lgkmcnt(0)
	s_add_u32 s0, s0, s4
	s_addc_u32 s1, s1, s5
	global_load_dwordx2 v[2:3], v4, s[0:1]
	v_lshrrev_b32_e32 v5, 3, v0
	v_lshrrev_b32_e32 v6, 5, v0
	v_add_u32_e32 v7, 0x80, v0
	v_add_u32_e32 v8, 0x100, v0
	;; [unrolled: 1-line block ×3, first 2 shown]
	v_lshlrev_b32_e32 v1, 2, v0
	v_and_b32_e32 v5, 62, v5
	v_and_b32_e32 v6, 14, v6
	v_lshrrev_b32_e32 v7, 5, v7
	v_lshrrev_b32_e32 v8, 5, v8
	;; [unrolled: 1-line block ×3, first 2 shown]
	v_add_lshl_u32 v1, v5, v1, 1
	v_add_lshl_u32 v5, v6, v0, 1
	v_and_b32_e32 v6, 30, v7
	v_and_b32_e32 v7, 30, v8
	;; [unrolled: 1-line block ×3, first 2 shown]
	v_add_lshl_u32 v6, v6, v0, 1
	v_add_lshl_u32 v7, v7, v0, 1
	;; [unrolled: 1-line block ×3, first 2 shown]
	s_mov_b32 s6, 0x5040100
	s_add_u32 s0, s2, s4
	s_addc_u32 s1, s3, s5
	s_waitcnt vmcnt(0)
	ds_write_b64 v1, v[2:3]
	s_waitcnt lgkmcnt(0)
	s_barrier
	ds_read_u16 v1, v7 offset:512
	ds_read_u16 v0, v0 offset:768
	ds_read_u16 v2, v5
	ds_read_u16 v3, v6 offset:256
	s_waitcnt lgkmcnt(2)
	v_perm_b32 v1, v0, v1, s6
	s_waitcnt lgkmcnt(0)
	v_perm_b32 v0, v3, v2, s6
	global_store_dwordx2 v4, v[0:1], s[0:1]
	s_endpgm
	.section	.rodata,"a",@progbits
	.p2align	6, 0x0
	.amdhsa_kernel _Z25blocked_to_striped_kernelI12hip_bfloat16S0_Lj512ELj4EEvPT_PT0_
		.amdhsa_group_segment_fixed_size 1056
		.amdhsa_private_segment_fixed_size 0
		.amdhsa_kernarg_size 16
		.amdhsa_user_sgpr_count 6
		.amdhsa_user_sgpr_private_segment_buffer 1
		.amdhsa_user_sgpr_dispatch_ptr 0
		.amdhsa_user_sgpr_queue_ptr 0
		.amdhsa_user_sgpr_kernarg_segment_ptr 1
		.amdhsa_user_sgpr_dispatch_id 0
		.amdhsa_user_sgpr_flat_scratch_init 0
		.amdhsa_user_sgpr_kernarg_preload_length 0
		.amdhsa_user_sgpr_kernarg_preload_offset 0
		.amdhsa_user_sgpr_private_segment_size 0
		.amdhsa_uses_dynamic_stack 0
		.amdhsa_system_sgpr_private_segment_wavefront_offset 0
		.amdhsa_system_sgpr_workgroup_id_x 1
		.amdhsa_system_sgpr_workgroup_id_y 0
		.amdhsa_system_sgpr_workgroup_id_z 0
		.amdhsa_system_sgpr_workgroup_info 0
		.amdhsa_system_vgpr_workitem_id 0
		.amdhsa_next_free_vgpr 10
		.amdhsa_next_free_sgpr 7
		.amdhsa_accum_offset 12
		.amdhsa_reserve_vcc 0
		.amdhsa_reserve_flat_scratch 0
		.amdhsa_float_round_mode_32 0
		.amdhsa_float_round_mode_16_64 0
		.amdhsa_float_denorm_mode_32 3
		.amdhsa_float_denorm_mode_16_64 3
		.amdhsa_dx10_clamp 1
		.amdhsa_ieee_mode 1
		.amdhsa_fp16_overflow 0
		.amdhsa_tg_split 0
		.amdhsa_exception_fp_ieee_invalid_op 0
		.amdhsa_exception_fp_denorm_src 0
		.amdhsa_exception_fp_ieee_div_zero 0
		.amdhsa_exception_fp_ieee_overflow 0
		.amdhsa_exception_fp_ieee_underflow 0
		.amdhsa_exception_fp_ieee_inexact 0
		.amdhsa_exception_int_div_zero 0
	.end_amdhsa_kernel
	.section	.text._Z25blocked_to_striped_kernelI12hip_bfloat16S0_Lj512ELj4EEvPT_PT0_,"axG",@progbits,_Z25blocked_to_striped_kernelI12hip_bfloat16S0_Lj512ELj4EEvPT_PT0_,comdat
.Lfunc_end16:
	.size	_Z25blocked_to_striped_kernelI12hip_bfloat16S0_Lj512ELj4EEvPT_PT0_, .Lfunc_end16-_Z25blocked_to_striped_kernelI12hip_bfloat16S0_Lj512ELj4EEvPT_PT0_
                                        ; -- End function
	.section	.AMDGPU.csdata,"",@progbits
; Kernel info:
; codeLenInByte = 256
; NumSgprs: 11
; NumVgprs: 10
; NumAgprs: 0
; TotalNumVgprs: 10
; ScratchSize: 0
; MemoryBound: 0
; FloatMode: 240
; IeeeMode: 1
; LDSByteSize: 1056 bytes/workgroup (compile time only)
; SGPRBlocks: 1
; VGPRBlocks: 1
; NumSGPRsForWavesPerEU: 11
; NumVGPRsForWavesPerEU: 10
; AccumOffset: 12
; Occupancy: 8
; WaveLimiterHint : 0
; COMPUTE_PGM_RSRC2:SCRATCH_EN: 0
; COMPUTE_PGM_RSRC2:USER_SGPR: 6
; COMPUTE_PGM_RSRC2:TRAP_HANDLER: 0
; COMPUTE_PGM_RSRC2:TGID_X_EN: 1
; COMPUTE_PGM_RSRC2:TGID_Y_EN: 0
; COMPUTE_PGM_RSRC2:TGID_Z_EN: 0
; COMPUTE_PGM_RSRC2:TIDIG_COMP_CNT: 0
; COMPUTE_PGM_RSRC3_GFX90A:ACCUM_OFFSET: 2
; COMPUTE_PGM_RSRC3_GFX90A:TG_SPLIT: 0
	.section	.text._Z25blocked_to_striped_kernelIfdLj512ELj4EEvPT_PT0_,"axG",@progbits,_Z25blocked_to_striped_kernelIfdLj512ELj4EEvPT_PT0_,comdat
	.protected	_Z25blocked_to_striped_kernelIfdLj512ELj4EEvPT_PT0_ ; -- Begin function _Z25blocked_to_striped_kernelIfdLj512ELj4EEvPT_PT0_
	.globl	_Z25blocked_to_striped_kernelIfdLj512ELj4EEvPT_PT0_
	.p2align	8
	.type	_Z25blocked_to_striped_kernelIfdLj512ELj4EEvPT_PT0_,@function
_Z25blocked_to_striped_kernelIfdLj512ELj4EEvPT_PT0_: ; @_Z25blocked_to_striped_kernelIfdLj512ELj4EEvPT_PT0_
; %bb.0:
	s_load_dwordx4 s[0:3], s[4:5], 0x0
	s_lshl_b32 s4, s6, 9
	s_mov_b32 s5, 0
	s_lshl_b64 s[6:7], s[4:5], 2
	v_lshlrev_b32_e32 v1, 4, v0
	s_waitcnt lgkmcnt(0)
	s_add_u32 s0, s0, s6
	s_addc_u32 s1, s1, s7
	global_load_dwordx4 v[2:5], v1, s[0:1]
	v_lshlrev_b32_e32 v1, 2, v0
	v_lshrrev_b32_e32 v6, 3, v0
	v_lshrrev_b32_e32 v7, 5, v0
	v_add_u32_e32 v8, 0x80, v0
	v_add_u32_e32 v9, 0x100, v0
	;; [unrolled: 1-line block ×3, first 2 shown]
	v_add_lshl_u32 v1, v6, v1, 2
	v_add_lshl_u32 v6, v7, v0, 2
	v_lshrrev_b32_e32 v7, 5, v8
	v_lshrrev_b32_e32 v8, 5, v9
	;; [unrolled: 1-line block ×3, first 2 shown]
	v_lshlrev_b32_e32 v11, 5, v0
	v_add_lshl_u32 v7, v7, v0, 2
	v_add_lshl_u32 v8, v8, v0, 2
	;; [unrolled: 1-line block ×3, first 2 shown]
	s_lshl_b64 s[0:1], s[4:5], 3
	s_add_u32 s0, s2, s0
	s_addc_u32 s1, s3, s1
	s_waitcnt vmcnt(0)
	ds_write2_b32 v1, v2, v3 offset1:1
	ds_write2_b32 v1, v4, v5 offset0:2 offset1:3
	s_waitcnt lgkmcnt(0)
	s_barrier
	ds_read_b32 v1, v6
	ds_read_b32 v2, v7 offset:512
	ds_read_b32 v4, v8 offset:1024
	;; [unrolled: 1-line block ×3, first 2 shown]
	s_waitcnt lgkmcnt(3)
	v_cvt_f64_f32_e32 v[0:1], v1
	s_waitcnt lgkmcnt(2)
	v_cvt_f64_f32_e32 v[2:3], v2
	;; [unrolled: 2-line block ×4, first 2 shown]
	global_store_dwordx4 v11, v[0:3], s[0:1]
	global_store_dwordx4 v11, v[4:7], s[0:1] offset:16
	s_endpgm
	.section	.rodata,"a",@progbits
	.p2align	6, 0x0
	.amdhsa_kernel _Z25blocked_to_striped_kernelIfdLj512ELj4EEvPT_PT0_
		.amdhsa_group_segment_fixed_size 2112
		.amdhsa_private_segment_fixed_size 0
		.amdhsa_kernarg_size 16
		.amdhsa_user_sgpr_count 6
		.amdhsa_user_sgpr_private_segment_buffer 1
		.amdhsa_user_sgpr_dispatch_ptr 0
		.amdhsa_user_sgpr_queue_ptr 0
		.amdhsa_user_sgpr_kernarg_segment_ptr 1
		.amdhsa_user_sgpr_dispatch_id 0
		.amdhsa_user_sgpr_flat_scratch_init 0
		.amdhsa_user_sgpr_kernarg_preload_length 0
		.amdhsa_user_sgpr_kernarg_preload_offset 0
		.amdhsa_user_sgpr_private_segment_size 0
		.amdhsa_uses_dynamic_stack 0
		.amdhsa_system_sgpr_private_segment_wavefront_offset 0
		.amdhsa_system_sgpr_workgroup_id_x 1
		.amdhsa_system_sgpr_workgroup_id_y 0
		.amdhsa_system_sgpr_workgroup_id_z 0
		.amdhsa_system_sgpr_workgroup_info 0
		.amdhsa_system_vgpr_workitem_id 0
		.amdhsa_next_free_vgpr 12
		.amdhsa_next_free_sgpr 8
		.amdhsa_accum_offset 12
		.amdhsa_reserve_vcc 0
		.amdhsa_reserve_flat_scratch 0
		.amdhsa_float_round_mode_32 0
		.amdhsa_float_round_mode_16_64 0
		.amdhsa_float_denorm_mode_32 3
		.amdhsa_float_denorm_mode_16_64 3
		.amdhsa_dx10_clamp 1
		.amdhsa_ieee_mode 1
		.amdhsa_fp16_overflow 0
		.amdhsa_tg_split 0
		.amdhsa_exception_fp_ieee_invalid_op 0
		.amdhsa_exception_fp_denorm_src 0
		.amdhsa_exception_fp_ieee_div_zero 0
		.amdhsa_exception_fp_ieee_overflow 0
		.amdhsa_exception_fp_ieee_underflow 0
		.amdhsa_exception_fp_ieee_inexact 0
		.amdhsa_exception_int_div_zero 0
	.end_amdhsa_kernel
	.section	.text._Z25blocked_to_striped_kernelIfdLj512ELj4EEvPT_PT0_,"axG",@progbits,_Z25blocked_to_striped_kernelIfdLj512ELj4EEvPT_PT0_,comdat
.Lfunc_end17:
	.size	_Z25blocked_to_striped_kernelIfdLj512ELj4EEvPT_PT0_, .Lfunc_end17-_Z25blocked_to_striped_kernelIfdLj512ELj4EEvPT_PT0_
                                        ; -- End function
	.section	.AMDGPU.csdata,"",@progbits
; Kernel info:
; codeLenInByte = 260
; NumSgprs: 12
; NumVgprs: 12
; NumAgprs: 0
; TotalNumVgprs: 12
; ScratchSize: 0
; MemoryBound: 0
; FloatMode: 240
; IeeeMode: 1
; LDSByteSize: 2112 bytes/workgroup (compile time only)
; SGPRBlocks: 1
; VGPRBlocks: 1
; NumSGPRsForWavesPerEU: 12
; NumVGPRsForWavesPerEU: 12
; AccumOffset: 12
; Occupancy: 8
; WaveLimiterHint : 0
; COMPUTE_PGM_RSRC2:SCRATCH_EN: 0
; COMPUTE_PGM_RSRC2:USER_SGPR: 6
; COMPUTE_PGM_RSRC2:TRAP_HANDLER: 0
; COMPUTE_PGM_RSRC2:TGID_X_EN: 1
; COMPUTE_PGM_RSRC2:TGID_Y_EN: 0
; COMPUTE_PGM_RSRC2:TGID_Z_EN: 0
; COMPUTE_PGM_RSRC2:TIDIG_COMP_CNT: 0
; COMPUTE_PGM_RSRC3_GFX90A:ACCUM_OFFSET: 2
; COMPUTE_PGM_RSRC3_GFX90A:TG_SPLIT: 0
	.section	.text._Z25blocked_to_striped_kernelIiiLj512ELj4EEvPT_PT0_,"axG",@progbits,_Z25blocked_to_striped_kernelIiiLj512ELj4EEvPT_PT0_,comdat
	.protected	_Z25blocked_to_striped_kernelIiiLj512ELj4EEvPT_PT0_ ; -- Begin function _Z25blocked_to_striped_kernelIiiLj512ELj4EEvPT_PT0_
	.globl	_Z25blocked_to_striped_kernelIiiLj512ELj4EEvPT_PT0_
	.p2align	8
	.type	_Z25blocked_to_striped_kernelIiiLj512ELj4EEvPT_PT0_,@function
_Z25blocked_to_striped_kernelIiiLj512ELj4EEvPT_PT0_: ; @_Z25blocked_to_striped_kernelIiiLj512ELj4EEvPT_PT0_
; %bb.0:
	s_load_dwordx4 s[0:3], s[4:5], 0x0
	s_lshl_b32 s4, s6, 9
	s_mov_b32 s5, 0
	s_lshl_b64 s[4:5], s[4:5], 2
	v_lshlrev_b32_e32 v6, 4, v0
	s_waitcnt lgkmcnt(0)
	s_add_u32 s0, s0, s4
	s_addc_u32 s1, s1, s5
	global_load_dwordx4 v[2:5], v6, s[0:1]
	v_lshlrev_b32_e32 v1, 2, v0
	v_lshrrev_b32_e32 v7, 3, v0
	v_lshrrev_b32_e32 v8, 5, v0
	v_add_u32_e32 v9, 0x80, v0
	v_add_u32_e32 v10, 0x100, v0
	;; [unrolled: 1-line block ×3, first 2 shown]
	v_add_lshl_u32 v1, v7, v1, 2
	v_add_lshl_u32 v7, v8, v0, 2
	v_lshrrev_b32_e32 v8, 5, v9
	v_lshrrev_b32_e32 v9, 5, v10
	v_lshrrev_b32_e32 v10, 5, v11
	v_add_lshl_u32 v8, v8, v0, 2
	v_add_lshl_u32 v9, v9, v0, 2
	v_add_lshl_u32 v10, v10, v0, 2
	s_add_u32 s0, s2, s4
	s_addc_u32 s1, s3, s5
	s_waitcnt vmcnt(0)
	ds_write2_b32 v1, v2, v3 offset1:1
	ds_write2_b32 v1, v4, v5 offset0:2 offset1:3
	s_waitcnt lgkmcnt(0)
	s_barrier
	ds_read_b32 v0, v7
	ds_read_b32 v1, v8 offset:512
	ds_read_b32 v2, v9 offset:1024
	;; [unrolled: 1-line block ×3, first 2 shown]
	s_waitcnt lgkmcnt(0)
	global_store_dwordx4 v6, v[0:3], s[0:1]
	s_endpgm
	.section	.rodata,"a",@progbits
	.p2align	6, 0x0
	.amdhsa_kernel _Z25blocked_to_striped_kernelIiiLj512ELj4EEvPT_PT0_
		.amdhsa_group_segment_fixed_size 2112
		.amdhsa_private_segment_fixed_size 0
		.amdhsa_kernarg_size 16
		.amdhsa_user_sgpr_count 6
		.amdhsa_user_sgpr_private_segment_buffer 1
		.amdhsa_user_sgpr_dispatch_ptr 0
		.amdhsa_user_sgpr_queue_ptr 0
		.amdhsa_user_sgpr_kernarg_segment_ptr 1
		.amdhsa_user_sgpr_dispatch_id 0
		.amdhsa_user_sgpr_flat_scratch_init 0
		.amdhsa_user_sgpr_kernarg_preload_length 0
		.amdhsa_user_sgpr_kernarg_preload_offset 0
		.amdhsa_user_sgpr_private_segment_size 0
		.amdhsa_uses_dynamic_stack 0
		.amdhsa_system_sgpr_private_segment_wavefront_offset 0
		.amdhsa_system_sgpr_workgroup_id_x 1
		.amdhsa_system_sgpr_workgroup_id_y 0
		.amdhsa_system_sgpr_workgroup_id_z 0
		.amdhsa_system_sgpr_workgroup_info 0
		.amdhsa_system_vgpr_workitem_id 0
		.amdhsa_next_free_vgpr 12
		.amdhsa_next_free_sgpr 7
		.amdhsa_accum_offset 12
		.amdhsa_reserve_vcc 0
		.amdhsa_reserve_flat_scratch 0
		.amdhsa_float_round_mode_32 0
		.amdhsa_float_round_mode_16_64 0
		.amdhsa_float_denorm_mode_32 3
		.amdhsa_float_denorm_mode_16_64 3
		.amdhsa_dx10_clamp 1
		.amdhsa_ieee_mode 1
		.amdhsa_fp16_overflow 0
		.amdhsa_tg_split 0
		.amdhsa_exception_fp_ieee_invalid_op 0
		.amdhsa_exception_fp_denorm_src 0
		.amdhsa_exception_fp_ieee_div_zero 0
		.amdhsa_exception_fp_ieee_overflow 0
		.amdhsa_exception_fp_ieee_underflow 0
		.amdhsa_exception_fp_ieee_inexact 0
		.amdhsa_exception_int_div_zero 0
	.end_amdhsa_kernel
	.section	.text._Z25blocked_to_striped_kernelIiiLj512ELj4EEvPT_PT0_,"axG",@progbits,_Z25blocked_to_striped_kernelIiiLj512ELj4EEvPT_PT0_,comdat
.Lfunc_end18:
	.size	_Z25blocked_to_striped_kernelIiiLj512ELj4EEvPT_PT0_, .Lfunc_end18-_Z25blocked_to_striped_kernelIiiLj512ELj4EEvPT_PT0_
                                        ; -- End function
	.section	.AMDGPU.csdata,"",@progbits
; Kernel info:
; codeLenInByte = 216
; NumSgprs: 11
; NumVgprs: 12
; NumAgprs: 0
; TotalNumVgprs: 12
; ScratchSize: 0
; MemoryBound: 0
; FloatMode: 240
; IeeeMode: 1
; LDSByteSize: 2112 bytes/workgroup (compile time only)
; SGPRBlocks: 1
; VGPRBlocks: 1
; NumSGPRsForWavesPerEU: 11
; NumVGPRsForWavesPerEU: 12
; AccumOffset: 12
; Occupancy: 8
; WaveLimiterHint : 0
; COMPUTE_PGM_RSRC2:SCRATCH_EN: 0
; COMPUTE_PGM_RSRC2:USER_SGPR: 6
; COMPUTE_PGM_RSRC2:TRAP_HANDLER: 0
; COMPUTE_PGM_RSRC2:TGID_X_EN: 1
; COMPUTE_PGM_RSRC2:TGID_Y_EN: 0
; COMPUTE_PGM_RSRC2:TGID_Z_EN: 0
; COMPUTE_PGM_RSRC2:TIDIG_COMP_CNT: 0
; COMPUTE_PGM_RSRC3_GFX90A:ACCUM_OFFSET: 2
; COMPUTE_PGM_RSRC3_GFX90A:TG_SPLIT: 0
	.section	.text._Z25striped_to_blocked_kernelIsiLj2106ELj9EEvPT_PT0_,"axG",@progbits,_Z25striped_to_blocked_kernelIsiLj2106ELj9EEvPT_PT0_,comdat
	.protected	_Z25striped_to_blocked_kernelIsiLj2106ELj9EEvPT_PT0_ ; -- Begin function _Z25striped_to_blocked_kernelIsiLj2106ELj9EEvPT_PT0_
	.globl	_Z25striped_to_blocked_kernelIsiLj2106ELj9EEvPT_PT0_
	.p2align	8
	.type	_Z25striped_to_blocked_kernelIsiLj2106ELj9EEvPT_PT0_,@function
_Z25striped_to_blocked_kernelIsiLj2106ELj9EEvPT_PT0_: ; @_Z25striped_to_blocked_kernelIsiLj2106ELj9EEvPT_PT0_
; %bb.0:
	s_load_dwordx4 s[0:3], s[4:5], 0x0
	s_mul_i32 s4, s6, 0x83a
	s_mov_b32 s5, 0
	s_lshl_b64 s[6:7], s[4:5], 1
	v_mul_u32_u24_e32 v1, 9, v0
	s_waitcnt lgkmcnt(0)
	s_add_u32 s0, s0, s6
	s_addc_u32 s1, s1, s7
	v_lshlrev_b32_e32 v6, 1, v1
	global_load_dwordx4 v[2:5], v6, s[0:1]
	global_load_ushort v7, v6, s[0:1] offset:16
	v_lshlrev_b32_e32 v0, 1, v0
	v_lshlrev_b32_e32 v12, 2, v1
	s_lshl_b64 s[0:1], s[4:5], 2
	s_add_u32 s0, s2, s0
	s_addc_u32 s1, s3, s1
	s_waitcnt vmcnt(1)
	ds_write_b16 v0, v2
	ds_write_b16_d16_hi v0, v2 offset:468
	ds_write_b16 v0, v3 offset:936
	ds_write_b16_d16_hi v0, v3 offset:1404
	ds_write_b16 v0, v4 offset:1872
	;; [unrolled: 2-line block ×3, first 2 shown]
	ds_write_b16_d16_hi v0, v5 offset:3276
	s_waitcnt vmcnt(0)
	ds_write_b16 v0, v7 offset:3744
	s_waitcnt lgkmcnt(0)
	s_barrier
	ds_read_b128 v[0:3], v6
	ds_read_i16 v13, v6 offset:16
	s_waitcnt lgkmcnt(1)
	v_ashrrev_i32_e32 v5, 16, v0
	v_bfe_i32 v4, v0, 0, 16
	v_ashrrev_i32_e32 v7, 16, v1
	v_bfe_i32 v6, v1, 0, 16
	;; [unrolled: 2-line block ×4, first 2 shown]
	global_store_dwordx4 v12, v[4:7], s[0:1]
	global_store_dwordx4 v12, v[8:11], s[0:1] offset:16
	s_waitcnt lgkmcnt(0)
	global_store_dword v12, v13, s[0:1] offset:32
	s_endpgm
	.section	.rodata,"a",@progbits
	.p2align	6, 0x0
	.amdhsa_kernel _Z25striped_to_blocked_kernelIsiLj2106ELj9EEvPT_PT0_
		.amdhsa_group_segment_fixed_size 4224
		.amdhsa_private_segment_fixed_size 0
		.amdhsa_kernarg_size 16
		.amdhsa_user_sgpr_count 6
		.amdhsa_user_sgpr_private_segment_buffer 1
		.amdhsa_user_sgpr_dispatch_ptr 0
		.amdhsa_user_sgpr_queue_ptr 0
		.amdhsa_user_sgpr_kernarg_segment_ptr 1
		.amdhsa_user_sgpr_dispatch_id 0
		.amdhsa_user_sgpr_flat_scratch_init 0
		.amdhsa_user_sgpr_kernarg_preload_length 0
		.amdhsa_user_sgpr_kernarg_preload_offset 0
		.amdhsa_user_sgpr_private_segment_size 0
		.amdhsa_uses_dynamic_stack 0
		.amdhsa_system_sgpr_private_segment_wavefront_offset 0
		.amdhsa_system_sgpr_workgroup_id_x 1
		.amdhsa_system_sgpr_workgroup_id_y 0
		.amdhsa_system_sgpr_workgroup_id_z 0
		.amdhsa_system_sgpr_workgroup_info 0
		.amdhsa_system_vgpr_workitem_id 0
		.amdhsa_next_free_vgpr 14
		.amdhsa_next_free_sgpr 8
		.amdhsa_accum_offset 16
		.amdhsa_reserve_vcc 0
		.amdhsa_reserve_flat_scratch 0
		.amdhsa_float_round_mode_32 0
		.amdhsa_float_round_mode_16_64 0
		.amdhsa_float_denorm_mode_32 3
		.amdhsa_float_denorm_mode_16_64 3
		.amdhsa_dx10_clamp 1
		.amdhsa_ieee_mode 1
		.amdhsa_fp16_overflow 0
		.amdhsa_tg_split 0
		.amdhsa_exception_fp_ieee_invalid_op 0
		.amdhsa_exception_fp_denorm_src 0
		.amdhsa_exception_fp_ieee_div_zero 0
		.amdhsa_exception_fp_ieee_overflow 0
		.amdhsa_exception_fp_ieee_underflow 0
		.amdhsa_exception_fp_ieee_inexact 0
		.amdhsa_exception_int_div_zero 0
	.end_amdhsa_kernel
	.section	.text._Z25striped_to_blocked_kernelIsiLj2106ELj9EEvPT_PT0_,"axG",@progbits,_Z25striped_to_blocked_kernelIsiLj2106ELj9EEvPT_PT0_,comdat
.Lfunc_end19:
	.size	_Z25striped_to_blocked_kernelIsiLj2106ELj9EEvPT_PT0_, .Lfunc_end19-_Z25striped_to_blocked_kernelIsiLj2106ELj9EEvPT_PT0_
                                        ; -- End function
	.section	.AMDGPU.csdata,"",@progbits
; Kernel info:
; codeLenInByte = 268
; NumSgprs: 12
; NumVgprs: 14
; NumAgprs: 0
; TotalNumVgprs: 14
; ScratchSize: 0
; MemoryBound: 0
; FloatMode: 240
; IeeeMode: 1
; LDSByteSize: 4224 bytes/workgroup (compile time only)
; SGPRBlocks: 1
; VGPRBlocks: 1
; NumSGPRsForWavesPerEU: 12
; NumVGPRsForWavesPerEU: 14
; AccumOffset: 16
; Occupancy: 8
; WaveLimiterHint : 0
; COMPUTE_PGM_RSRC2:SCRATCH_EN: 0
; COMPUTE_PGM_RSRC2:USER_SGPR: 6
; COMPUTE_PGM_RSRC2:TRAP_HANDLER: 0
; COMPUTE_PGM_RSRC2:TGID_X_EN: 1
; COMPUTE_PGM_RSRC2:TGID_Y_EN: 0
; COMPUTE_PGM_RSRC2:TGID_Z_EN: 0
; COMPUTE_PGM_RSRC2:TIDIG_COMP_CNT: 0
; COMPUTE_PGM_RSRC3_GFX90A:ACCUM_OFFSET: 3
; COMPUTE_PGM_RSRC3_GFX90A:TG_SPLIT: 0
	.section	.text._Z25striped_to_blocked_kernelItjLj300ELj3EEvPT_PT0_,"axG",@progbits,_Z25striped_to_blocked_kernelItjLj300ELj3EEvPT_PT0_,comdat
	.protected	_Z25striped_to_blocked_kernelItjLj300ELj3EEvPT_PT0_ ; -- Begin function _Z25striped_to_blocked_kernelItjLj300ELj3EEvPT_PT0_
	.globl	_Z25striped_to_blocked_kernelItjLj300ELj3EEvPT_PT0_
	.p2align	8
	.type	_Z25striped_to_blocked_kernelItjLj300ELj3EEvPT_PT0_,@function
_Z25striped_to_blocked_kernelItjLj300ELj3EEvPT_PT0_: ; @_Z25striped_to_blocked_kernelItjLj300ELj3EEvPT_PT0_
; %bb.0:
	s_load_dwordx4 s[0:3], s[4:5], 0x0
	s_mul_i32 s4, s6, 0x12c
	s_mov_b32 s5, 0
	s_lshl_b64 s[6:7], s[4:5], 1
	v_mul_u32_u24_e32 v1, 3, v0
	s_waitcnt lgkmcnt(0)
	s_add_u32 s0, s0, s6
	s_addc_u32 s1, s1, s7
	v_lshlrev_b32_e32 v2, 1, v1
	global_load_dword v3, v2, s[0:1]
	global_load_ushort v4, v2, s[0:1] offset:4
	v_lshlrev_b32_e32 v0, 1, v0
	s_lshl_b64 s[0:1], s[4:5], 2
	s_add_u32 s0, s2, s0
	v_lshlrev_b32_e32 v5, 2, v1
	s_addc_u32 s1, s3, s1
	s_waitcnt vmcnt(1)
	ds_write_b16 v0, v3
	ds_write_b16_d16_hi v0, v3 offset:200
	s_waitcnt vmcnt(0)
	ds_write_b16 v0, v4 offset:400
	s_waitcnt lgkmcnt(0)
	s_barrier
	ds_read_b32 v0, v2
	ds_read_u16 v2, v2 offset:4
	s_waitcnt lgkmcnt(1)
	v_lshrrev_b32_e32 v1, 16, v0
	v_and_b32_e32 v0, 0xffff, v0
	s_waitcnt lgkmcnt(0)
	global_store_dwordx3 v5, v[0:2], s[0:1]
	s_endpgm
	.section	.rodata,"a",@progbits
	.p2align	6, 0x0
	.amdhsa_kernel _Z25striped_to_blocked_kernelItjLj300ELj3EEvPT_PT0_
		.amdhsa_group_segment_fixed_size 608
		.amdhsa_private_segment_fixed_size 0
		.amdhsa_kernarg_size 16
		.amdhsa_user_sgpr_count 6
		.amdhsa_user_sgpr_private_segment_buffer 1
		.amdhsa_user_sgpr_dispatch_ptr 0
		.amdhsa_user_sgpr_queue_ptr 0
		.amdhsa_user_sgpr_kernarg_segment_ptr 1
		.amdhsa_user_sgpr_dispatch_id 0
		.amdhsa_user_sgpr_flat_scratch_init 0
		.amdhsa_user_sgpr_kernarg_preload_length 0
		.amdhsa_user_sgpr_kernarg_preload_offset 0
		.amdhsa_user_sgpr_private_segment_size 0
		.amdhsa_uses_dynamic_stack 0
		.amdhsa_system_sgpr_private_segment_wavefront_offset 0
		.amdhsa_system_sgpr_workgroup_id_x 1
		.amdhsa_system_sgpr_workgroup_id_y 0
		.amdhsa_system_sgpr_workgroup_id_z 0
		.amdhsa_system_sgpr_workgroup_info 0
		.amdhsa_system_vgpr_workitem_id 0
		.amdhsa_next_free_vgpr 6
		.amdhsa_next_free_sgpr 8
		.amdhsa_accum_offset 8
		.amdhsa_reserve_vcc 0
		.amdhsa_reserve_flat_scratch 0
		.amdhsa_float_round_mode_32 0
		.amdhsa_float_round_mode_16_64 0
		.amdhsa_float_denorm_mode_32 3
		.amdhsa_float_denorm_mode_16_64 3
		.amdhsa_dx10_clamp 1
		.amdhsa_ieee_mode 1
		.amdhsa_fp16_overflow 0
		.amdhsa_tg_split 0
		.amdhsa_exception_fp_ieee_invalid_op 0
		.amdhsa_exception_fp_denorm_src 0
		.amdhsa_exception_fp_ieee_div_zero 0
		.amdhsa_exception_fp_ieee_overflow 0
		.amdhsa_exception_fp_ieee_underflow 0
		.amdhsa_exception_fp_ieee_inexact 0
		.amdhsa_exception_int_div_zero 0
	.end_amdhsa_kernel
	.section	.text._Z25striped_to_blocked_kernelItjLj300ELj3EEvPT_PT0_,"axG",@progbits,_Z25striped_to_blocked_kernelItjLj300ELj3EEvPT_PT0_,comdat
.Lfunc_end20:
	.size	_Z25striped_to_blocked_kernelItjLj300ELj3EEvPT_PT0_, .Lfunc_end20-_Z25striped_to_blocked_kernelItjLj300ELj3EEvPT_PT0_
                                        ; -- End function
	.section	.AMDGPU.csdata,"",@progbits
; Kernel info:
; codeLenInByte = 168
; NumSgprs: 12
; NumVgprs: 6
; NumAgprs: 0
; TotalNumVgprs: 6
; ScratchSize: 0
; MemoryBound: 0
; FloatMode: 240
; IeeeMode: 1
; LDSByteSize: 608 bytes/workgroup (compile time only)
; SGPRBlocks: 1
; VGPRBlocks: 0
; NumSGPRsForWavesPerEU: 12
; NumVGPRsForWavesPerEU: 6
; AccumOffset: 8
; Occupancy: 8
; WaveLimiterHint : 0
; COMPUTE_PGM_RSRC2:SCRATCH_EN: 0
; COMPUTE_PGM_RSRC2:USER_SGPR: 6
; COMPUTE_PGM_RSRC2:TRAP_HANDLER: 0
; COMPUTE_PGM_RSRC2:TGID_X_EN: 1
; COMPUTE_PGM_RSRC2:TGID_Y_EN: 0
; COMPUTE_PGM_RSRC2:TGID_Z_EN: 0
; COMPUTE_PGM_RSRC2:TIDIG_COMP_CNT: 0
; COMPUTE_PGM_RSRC3_GFX90A:ACCUM_OFFSET: 1
; COMPUTE_PGM_RSRC3_GFX90A:TG_SPLIT: 0
	.section	.text._Z25striped_to_blocked_kernelIc5dummyIdELj928ELj2EEvPT_PT0_,"axG",@progbits,_Z25striped_to_blocked_kernelIc5dummyIdELj928ELj2EEvPT_PT0_,comdat
	.protected	_Z25striped_to_blocked_kernelIc5dummyIdELj928ELj2EEvPT_PT0_ ; -- Begin function _Z25striped_to_blocked_kernelIc5dummyIdELj928ELj2EEvPT_PT0_
	.globl	_Z25striped_to_blocked_kernelIc5dummyIdELj928ELj2EEvPT_PT0_
	.p2align	8
	.type	_Z25striped_to_blocked_kernelIc5dummyIdELj928ELj2EEvPT_PT0_,@function
_Z25striped_to_blocked_kernelIc5dummyIdELj928ELj2EEvPT_PT0_: ; @_Z25striped_to_blocked_kernelIc5dummyIdELj928ELj2EEvPT_PT0_
; %bb.0:
	s_load_dwordx4 s[0:3], s[4:5], 0x0
	s_mul_i32 s4, s6, 0x3a0
	v_lshlrev_b32_e32 v1, 1, v0
	v_add_u32_e32 v4, 0x1d0, v0
	v_lshrrev_b32_e32 v3, 5, v0
	s_waitcnt lgkmcnt(0)
	s_add_u32 s0, s0, s4
	s_addc_u32 s1, s1, 0
	global_load_ushort v2, v1, s[0:1]
	v_lshrrev_b32_e32 v5, 4, v0
	v_lshrrev_b32_e32 v4, 5, v4
	v_and_b32_e32 v3, 12, v3
	v_and_b32_e32 v5, 28, v5
	;; [unrolled: 1-line block ×3, first 2 shown]
	v_lshlrev_b32_e32 v8, 5, v0
	v_add_u32_e32 v3, v3, v0
	v_add_u32_e32 v1, v5, v1
	;; [unrolled: 1-line block ×3, first 2 shown]
	s_mov_b32 s5, 0
	s_lshl_b64 s[0:1], s[4:5], 4
	s_add_u32 s0, s2, s0
	s_addc_u32 s1, s3, s1
	s_waitcnt vmcnt(0)
	v_lshrrev_b16_e32 v4, 8, v2
	ds_write_b8 v3, v2
	ds_write_b8 v0, v4 offset:464
	s_waitcnt lgkmcnt(0)
	s_barrier
	ds_read_i8 v0, v1
	ds_read_i8 v1, v1 offset:1
	s_waitcnt lgkmcnt(1)
	v_add_u32_e32 v2, 1, v0
	v_lshlrev_b32_e32 v3, 1, v0
	s_waitcnt lgkmcnt(0)
	v_add_u32_e32 v4, 1, v1
	v_lshlrev_b32_e32 v6, 1, v1
	v_cvt_f64_i32_e32 v[0:1], v2
	v_cvt_f64_i32_e32 v[2:3], v3
	;; [unrolled: 1-line block ×4, first 2 shown]
	global_store_dwordx4 v8, v[0:3], s[0:1]
	global_store_dwordx4 v8, v[4:7], s[0:1] offset:16
	s_endpgm
	.section	.rodata,"a",@progbits
	.p2align	6, 0x0
	.amdhsa_kernel _Z25striped_to_blocked_kernelIc5dummyIdELj928ELj2EEvPT_PT0_
		.amdhsa_group_segment_fixed_size 960
		.amdhsa_private_segment_fixed_size 0
		.amdhsa_kernarg_size 16
		.amdhsa_user_sgpr_count 6
		.amdhsa_user_sgpr_private_segment_buffer 1
		.amdhsa_user_sgpr_dispatch_ptr 0
		.amdhsa_user_sgpr_queue_ptr 0
		.amdhsa_user_sgpr_kernarg_segment_ptr 1
		.amdhsa_user_sgpr_dispatch_id 0
		.amdhsa_user_sgpr_flat_scratch_init 0
		.amdhsa_user_sgpr_kernarg_preload_length 0
		.amdhsa_user_sgpr_kernarg_preload_offset 0
		.amdhsa_user_sgpr_private_segment_size 0
		.amdhsa_uses_dynamic_stack 0
		.amdhsa_system_sgpr_private_segment_wavefront_offset 0
		.amdhsa_system_sgpr_workgroup_id_x 1
		.amdhsa_system_sgpr_workgroup_id_y 0
		.amdhsa_system_sgpr_workgroup_id_z 0
		.amdhsa_system_sgpr_workgroup_info 0
		.amdhsa_system_vgpr_workitem_id 0
		.amdhsa_next_free_vgpr 9
		.amdhsa_next_free_sgpr 7
		.amdhsa_accum_offset 12
		.amdhsa_reserve_vcc 0
		.amdhsa_reserve_flat_scratch 0
		.amdhsa_float_round_mode_32 0
		.amdhsa_float_round_mode_16_64 0
		.amdhsa_float_denorm_mode_32 3
		.amdhsa_float_denorm_mode_16_64 3
		.amdhsa_dx10_clamp 1
		.amdhsa_ieee_mode 1
		.amdhsa_fp16_overflow 0
		.amdhsa_tg_split 0
		.amdhsa_exception_fp_ieee_invalid_op 0
		.amdhsa_exception_fp_denorm_src 0
		.amdhsa_exception_fp_ieee_div_zero 0
		.amdhsa_exception_fp_ieee_overflow 0
		.amdhsa_exception_fp_ieee_underflow 0
		.amdhsa_exception_fp_ieee_inexact 0
		.amdhsa_exception_int_div_zero 0
	.end_amdhsa_kernel
	.section	.text._Z25striped_to_blocked_kernelIc5dummyIdELj928ELj2EEvPT_PT0_,"axG",@progbits,_Z25striped_to_blocked_kernelIc5dummyIdELj928ELj2EEvPT_PT0_,comdat
.Lfunc_end21:
	.size	_Z25striped_to_blocked_kernelIc5dummyIdELj928ELj2EEvPT_PT0_, .Lfunc_end21-_Z25striped_to_blocked_kernelIc5dummyIdELj928ELj2EEvPT_PT0_
                                        ; -- End function
	.section	.AMDGPU.csdata,"",@progbits
; Kernel info:
; codeLenInByte = 212
; NumSgprs: 11
; NumVgprs: 9
; NumAgprs: 0
; TotalNumVgprs: 9
; ScratchSize: 0
; MemoryBound: 0
; FloatMode: 240
; IeeeMode: 1
; LDSByteSize: 960 bytes/workgroup (compile time only)
; SGPRBlocks: 1
; VGPRBlocks: 1
; NumSGPRsForWavesPerEU: 11
; NumVGPRsForWavesPerEU: 9
; AccumOffset: 12
; Occupancy: 8
; WaveLimiterHint : 0
; COMPUTE_PGM_RSRC2:SCRATCH_EN: 0
; COMPUTE_PGM_RSRC2:USER_SGPR: 6
; COMPUTE_PGM_RSRC2:TRAP_HANDLER: 0
; COMPUTE_PGM_RSRC2:TGID_X_EN: 1
; COMPUTE_PGM_RSRC2:TGID_Y_EN: 0
; COMPUTE_PGM_RSRC2:TGID_Z_EN: 0
; COMPUTE_PGM_RSRC2:TIDIG_COMP_CNT: 0
; COMPUTE_PGM_RSRC3_GFX90A:ACCUM_OFFSET: 2
; COMPUTE_PGM_RSRC3_GFX90A:TG_SPLIT: 0
	.section	.text._Z25striped_to_blocked_kernelIfiLj165ELj5EEvPT_PT0_,"axG",@progbits,_Z25striped_to_blocked_kernelIfiLj165ELj5EEvPT_PT0_,comdat
	.protected	_Z25striped_to_blocked_kernelIfiLj165ELj5EEvPT_PT0_ ; -- Begin function _Z25striped_to_blocked_kernelIfiLj165ELj5EEvPT_PT0_
	.globl	_Z25striped_to_blocked_kernelIfiLj165ELj5EEvPT_PT0_
	.p2align	8
	.type	_Z25striped_to_blocked_kernelIfiLj165ELj5EEvPT_PT0_,@function
_Z25striped_to_blocked_kernelIfiLj165ELj5EEvPT_PT0_: ; @_Z25striped_to_blocked_kernelIfiLj165ELj5EEvPT_PT0_
; %bb.0:
	s_load_dwordx4 s[0:3], s[4:5], 0x0
	s_mul_i32 s4, s6, 0xa5
	s_mov_b32 s5, 0
	s_lshl_b64 s[4:5], s[4:5], 2
	v_mul_u32_u24_e32 v1, 5, v0
	s_waitcnt lgkmcnt(0)
	s_add_u32 s0, s0, s4
	s_addc_u32 s1, s1, s5
	v_lshlrev_b32_e32 v6, 2, v1
	global_load_dwordx4 v[2:5], v6, s[0:1]
	global_load_dword v1, v6, s[0:1] offset:16
	v_lshlrev_b32_e32 v0, 2, v0
	s_add_u32 s0, s2, s4
	s_addc_u32 s1, s3, s5
	s_waitcnt vmcnt(1)
	ds_write2_b32 v0, v2, v3 offset1:33
	ds_write2_b32 v0, v4, v5 offset0:66 offset1:99
	s_waitcnt vmcnt(0)
	ds_write_b32 v0, v1 offset:528
	s_waitcnt lgkmcnt(0)
	s_barrier
	ds_read2_b32 v[0:1], v6 offset1:1
	ds_read2_b32 v[2:3], v6 offset0:2 offset1:3
	ds_read_b32 v4, v6 offset:16
	s_waitcnt lgkmcnt(2)
	v_cvt_i32_f32_e32 v1, v1
	v_cvt_i32_f32_e32 v0, v0
	s_waitcnt lgkmcnt(1)
	v_cvt_i32_f32_e32 v3, v3
	v_cvt_i32_f32_e32 v2, v2
	s_waitcnt lgkmcnt(0)
	v_cvt_i32_f32_e32 v4, v4
	global_store_dwordx4 v6, v[0:3], s[0:1]
	global_store_dword v6, v4, s[0:1] offset:16
	s_endpgm
	.section	.rodata,"a",@progbits
	.p2align	6, 0x0
	.amdhsa_kernel _Z25striped_to_blocked_kernelIfiLj165ELj5EEvPT_PT0_
		.amdhsa_group_segment_fixed_size 672
		.amdhsa_private_segment_fixed_size 0
		.amdhsa_kernarg_size 16
		.amdhsa_user_sgpr_count 6
		.amdhsa_user_sgpr_private_segment_buffer 1
		.amdhsa_user_sgpr_dispatch_ptr 0
		.amdhsa_user_sgpr_queue_ptr 0
		.amdhsa_user_sgpr_kernarg_segment_ptr 1
		.amdhsa_user_sgpr_dispatch_id 0
		.amdhsa_user_sgpr_flat_scratch_init 0
		.amdhsa_user_sgpr_kernarg_preload_length 0
		.amdhsa_user_sgpr_kernarg_preload_offset 0
		.amdhsa_user_sgpr_private_segment_size 0
		.amdhsa_uses_dynamic_stack 0
		.amdhsa_system_sgpr_private_segment_wavefront_offset 0
		.amdhsa_system_sgpr_workgroup_id_x 1
		.amdhsa_system_sgpr_workgroup_id_y 0
		.amdhsa_system_sgpr_workgroup_id_z 0
		.amdhsa_system_sgpr_workgroup_info 0
		.amdhsa_system_vgpr_workitem_id 0
		.amdhsa_next_free_vgpr 7
		.amdhsa_next_free_sgpr 7
		.amdhsa_accum_offset 8
		.amdhsa_reserve_vcc 0
		.amdhsa_reserve_flat_scratch 0
		.amdhsa_float_round_mode_32 0
		.amdhsa_float_round_mode_16_64 0
		.amdhsa_float_denorm_mode_32 3
		.amdhsa_float_denorm_mode_16_64 3
		.amdhsa_dx10_clamp 1
		.amdhsa_ieee_mode 1
		.amdhsa_fp16_overflow 0
		.amdhsa_tg_split 0
		.amdhsa_exception_fp_ieee_invalid_op 0
		.amdhsa_exception_fp_denorm_src 0
		.amdhsa_exception_fp_ieee_div_zero 0
		.amdhsa_exception_fp_ieee_overflow 0
		.amdhsa_exception_fp_ieee_underflow 0
		.amdhsa_exception_fp_ieee_inexact 0
		.amdhsa_exception_int_div_zero 0
	.end_amdhsa_kernel
	.section	.text._Z25striped_to_blocked_kernelIfiLj165ELj5EEvPT_PT0_,"axG",@progbits,_Z25striped_to_blocked_kernelIfiLj165ELj5EEvPT_PT0_,comdat
.Lfunc_end22:
	.size	_Z25striped_to_blocked_kernelIfiLj165ELj5EEvPT_PT0_, .Lfunc_end22-_Z25striped_to_blocked_kernelIfiLj165ELj5EEvPT_PT0_
                                        ; -- End function
	.section	.AMDGPU.csdata,"",@progbits
; Kernel info:
; codeLenInByte = 188
; NumSgprs: 11
; NumVgprs: 7
; NumAgprs: 0
; TotalNumVgprs: 7
; ScratchSize: 0
; MemoryBound: 0
; FloatMode: 240
; IeeeMode: 1
; LDSByteSize: 672 bytes/workgroup (compile time only)
; SGPRBlocks: 1
; VGPRBlocks: 0
; NumSGPRsForWavesPerEU: 11
; NumVGPRsForWavesPerEU: 7
; AccumOffset: 8
; Occupancy: 8
; WaveLimiterHint : 0
; COMPUTE_PGM_RSRC2:SCRATCH_EN: 0
; COMPUTE_PGM_RSRC2:USER_SGPR: 6
; COMPUTE_PGM_RSRC2:TRAP_HANDLER: 0
; COMPUTE_PGM_RSRC2:TGID_X_EN: 1
; COMPUTE_PGM_RSRC2:TGID_Y_EN: 0
; COMPUTE_PGM_RSRC2:TGID_Z_EN: 0
; COMPUTE_PGM_RSRC2:TIDIG_COMP_CNT: 0
; COMPUTE_PGM_RSRC3_GFX90A:ACCUM_OFFSET: 1
; COMPUTE_PGM_RSRC3_GFX90A:TG_SPLIT: 0
	.section	.text._Z25striped_to_blocked_kernelIidLj165ELj5EEvPT_PT0_,"axG",@progbits,_Z25striped_to_blocked_kernelIidLj165ELj5EEvPT_PT0_,comdat
	.protected	_Z25striped_to_blocked_kernelIidLj165ELj5EEvPT_PT0_ ; -- Begin function _Z25striped_to_blocked_kernelIidLj165ELj5EEvPT_PT0_
	.globl	_Z25striped_to_blocked_kernelIidLj165ELj5EEvPT_PT0_
	.p2align	8
	.type	_Z25striped_to_blocked_kernelIidLj165ELj5EEvPT_PT0_,@function
_Z25striped_to_blocked_kernelIidLj165ELj5EEvPT_PT0_: ; @_Z25striped_to_blocked_kernelIidLj165ELj5EEvPT_PT0_
; %bb.0:
	s_load_dwordx4 s[0:3], s[4:5], 0x0
	s_mul_i32 s4, s6, 0xa5
	s_mov_b32 s5, 0
	s_lshl_b64 s[6:7], s[4:5], 2
	v_mul_u32_u24_e32 v1, 5, v0
	s_waitcnt lgkmcnt(0)
	s_add_u32 s0, s0, s6
	s_addc_u32 s1, s1, s7
	v_lshlrev_b32_e32 v8, 2, v1
	global_load_dwordx4 v[2:5], v8, s[0:1]
	global_load_dword v6, v8, s[0:1] offset:16
	v_lshlrev_b32_e32 v0, 2, v0
	s_lshl_b64 s[0:1], s[4:5], 3
	s_add_u32 s0, s2, s0
	v_lshlrev_b32_e32 v10, 3, v1
	s_addc_u32 s1, s3, s1
	s_waitcnt vmcnt(1)
	ds_write2_b32 v0, v2, v3 offset1:33
	ds_write2_b32 v0, v4, v5 offset0:66 offset1:99
	s_waitcnt vmcnt(0)
	ds_write_b32 v0, v6 offset:528
	s_waitcnt lgkmcnt(0)
	s_barrier
	ds_read2_b32 v[2:3], v8 offset1:1
	ds_read2_b32 v[6:7], v8 offset0:2 offset1:3
	ds_read_b32 v8, v8 offset:16
	s_waitcnt lgkmcnt(2)
	v_cvt_f64_i32_e32 v[0:1], v2
	v_cvt_f64_i32_e32 v[2:3], v3
	s_waitcnt lgkmcnt(1)
	v_cvt_f64_i32_e32 v[4:5], v6
	v_cvt_f64_i32_e32 v[6:7], v7
	s_waitcnt lgkmcnt(0)
	v_cvt_f64_i32_e32 v[8:9], v8
	global_store_dwordx4 v10, v[0:3], s[0:1]
	global_store_dwordx4 v10, v[4:7], s[0:1] offset:16
	global_store_dwordx2 v10, v[8:9], s[0:1] offset:32
	s_endpgm
	.section	.rodata,"a",@progbits
	.p2align	6, 0x0
	.amdhsa_kernel _Z25striped_to_blocked_kernelIidLj165ELj5EEvPT_PT0_
		.amdhsa_group_segment_fixed_size 672
		.amdhsa_private_segment_fixed_size 0
		.amdhsa_kernarg_size 16
		.amdhsa_user_sgpr_count 6
		.amdhsa_user_sgpr_private_segment_buffer 1
		.amdhsa_user_sgpr_dispatch_ptr 0
		.amdhsa_user_sgpr_queue_ptr 0
		.amdhsa_user_sgpr_kernarg_segment_ptr 1
		.amdhsa_user_sgpr_dispatch_id 0
		.amdhsa_user_sgpr_flat_scratch_init 0
		.amdhsa_user_sgpr_kernarg_preload_length 0
		.amdhsa_user_sgpr_kernarg_preload_offset 0
		.amdhsa_user_sgpr_private_segment_size 0
		.amdhsa_uses_dynamic_stack 0
		.amdhsa_system_sgpr_private_segment_wavefront_offset 0
		.amdhsa_system_sgpr_workgroup_id_x 1
		.amdhsa_system_sgpr_workgroup_id_y 0
		.amdhsa_system_sgpr_workgroup_id_z 0
		.amdhsa_system_sgpr_workgroup_info 0
		.amdhsa_system_vgpr_workitem_id 0
		.amdhsa_next_free_vgpr 11
		.amdhsa_next_free_sgpr 8
		.amdhsa_accum_offset 12
		.amdhsa_reserve_vcc 0
		.amdhsa_reserve_flat_scratch 0
		.amdhsa_float_round_mode_32 0
		.amdhsa_float_round_mode_16_64 0
		.amdhsa_float_denorm_mode_32 3
		.amdhsa_float_denorm_mode_16_64 3
		.amdhsa_dx10_clamp 1
		.amdhsa_ieee_mode 1
		.amdhsa_fp16_overflow 0
		.amdhsa_tg_split 0
		.amdhsa_exception_fp_ieee_invalid_op 0
		.amdhsa_exception_fp_denorm_src 0
		.amdhsa_exception_fp_ieee_div_zero 0
		.amdhsa_exception_fp_ieee_overflow 0
		.amdhsa_exception_fp_ieee_underflow 0
		.amdhsa_exception_fp_ieee_inexact 0
		.amdhsa_exception_int_div_zero 0
	.end_amdhsa_kernel
	.section	.text._Z25striped_to_blocked_kernelIidLj165ELj5EEvPT_PT0_,"axG",@progbits,_Z25striped_to_blocked_kernelIidLj165ELj5EEvPT_PT0_,comdat
.Lfunc_end23:
	.size	_Z25striped_to_blocked_kernelIidLj165ELj5EEvPT_PT0_, .Lfunc_end23-_Z25striped_to_blocked_kernelIidLj165ELj5EEvPT_PT0_
                                        ; -- End function
	.section	.AMDGPU.csdata,"",@progbits
; Kernel info:
; codeLenInByte = 204
; NumSgprs: 12
; NumVgprs: 11
; NumAgprs: 0
; TotalNumVgprs: 11
; ScratchSize: 0
; MemoryBound: 0
; FloatMode: 240
; IeeeMode: 1
; LDSByteSize: 672 bytes/workgroup (compile time only)
; SGPRBlocks: 1
; VGPRBlocks: 1
; NumSGPRsForWavesPerEU: 12
; NumVGPRsForWavesPerEU: 11
; AccumOffset: 12
; Occupancy: 8
; WaveLimiterHint : 0
; COMPUTE_PGM_RSRC2:SCRATCH_EN: 0
; COMPUTE_PGM_RSRC2:USER_SGPR: 6
; COMPUTE_PGM_RSRC2:TRAP_HANDLER: 0
; COMPUTE_PGM_RSRC2:TGID_X_EN: 1
; COMPUTE_PGM_RSRC2:TGID_Y_EN: 0
; COMPUTE_PGM_RSRC2:TGID_Z_EN: 0
; COMPUTE_PGM_RSRC2:TIDIG_COMP_CNT: 0
; COMPUTE_PGM_RSRC3_GFX90A:ACCUM_OFFSET: 2
; COMPUTE_PGM_RSRC3_GFX90A:TG_SPLIT: 0
	.section	.text._Z25striped_to_blocked_kernelIyyLj192ELj3EEvPT_PT0_,"axG",@progbits,_Z25striped_to_blocked_kernelIyyLj192ELj3EEvPT_PT0_,comdat
	.protected	_Z25striped_to_blocked_kernelIyyLj192ELj3EEvPT_PT0_ ; -- Begin function _Z25striped_to_blocked_kernelIyyLj192ELj3EEvPT_PT0_
	.globl	_Z25striped_to_blocked_kernelIyyLj192ELj3EEvPT_PT0_
	.p2align	8
	.type	_Z25striped_to_blocked_kernelIyyLj192ELj3EEvPT_PT0_,@function
_Z25striped_to_blocked_kernelIyyLj192ELj3EEvPT_PT0_: ; @_Z25striped_to_blocked_kernelIyyLj192ELj3EEvPT_PT0_
; %bb.0:
	s_load_dwordx4 s[0:3], s[4:5], 0x0
	s_mul_i32 s4, s6, 0xc0
	s_mov_b32 s5, 0
	s_lshl_b64 s[4:5], s[4:5], 3
	v_mul_u32_u24_e32 v1, 3, v0
	s_waitcnt lgkmcnt(0)
	s_add_u32 s0, s0, s4
	s_addc_u32 s1, s1, s5
	v_lshlrev_b32_e32 v8, 3, v1
	global_load_dwordx4 v[2:5], v8, s[0:1]
	global_load_dwordx2 v[6:7], v8, s[0:1] offset:16
	v_lshlrev_b32_e32 v0, 3, v0
	s_add_u32 s0, s2, s4
	s_addc_u32 s1, s3, s5
	s_waitcnt vmcnt(1)
	ds_write2st64_b64 v0, v[2:3], v[4:5] offset1:1
	s_waitcnt vmcnt(0)
	ds_write_b64 v0, v[6:7] offset:1024
	s_waitcnt lgkmcnt(0)
	s_barrier
	ds_read2_b64 v[0:3], v8 offset1:1
	ds_read_b64 v[4:5], v8 offset:16
	s_waitcnt lgkmcnt(1)
	global_store_dwordx4 v8, v[0:3], s[0:1]
	s_waitcnt lgkmcnt(0)
	global_store_dwordx2 v8, v[4:5], s[0:1] offset:16
	s_endpgm
	.section	.rodata,"a",@progbits
	.p2align	6, 0x0
	.amdhsa_kernel _Z25striped_to_blocked_kernelIyyLj192ELj3EEvPT_PT0_
		.amdhsa_group_segment_fixed_size 1536
		.amdhsa_private_segment_fixed_size 0
		.amdhsa_kernarg_size 16
		.amdhsa_user_sgpr_count 6
		.amdhsa_user_sgpr_private_segment_buffer 1
		.amdhsa_user_sgpr_dispatch_ptr 0
		.amdhsa_user_sgpr_queue_ptr 0
		.amdhsa_user_sgpr_kernarg_segment_ptr 1
		.amdhsa_user_sgpr_dispatch_id 0
		.amdhsa_user_sgpr_flat_scratch_init 0
		.amdhsa_user_sgpr_kernarg_preload_length 0
		.amdhsa_user_sgpr_kernarg_preload_offset 0
		.amdhsa_user_sgpr_private_segment_size 0
		.amdhsa_uses_dynamic_stack 0
		.amdhsa_system_sgpr_private_segment_wavefront_offset 0
		.amdhsa_system_sgpr_workgroup_id_x 1
		.amdhsa_system_sgpr_workgroup_id_y 0
		.amdhsa_system_sgpr_workgroup_id_z 0
		.amdhsa_system_sgpr_workgroup_info 0
		.amdhsa_system_vgpr_workitem_id 0
		.amdhsa_next_free_vgpr 9
		.amdhsa_next_free_sgpr 7
		.amdhsa_accum_offset 12
		.amdhsa_reserve_vcc 0
		.amdhsa_reserve_flat_scratch 0
		.amdhsa_float_round_mode_32 0
		.amdhsa_float_round_mode_16_64 0
		.amdhsa_float_denorm_mode_32 3
		.amdhsa_float_denorm_mode_16_64 3
		.amdhsa_dx10_clamp 1
		.amdhsa_ieee_mode 1
		.amdhsa_fp16_overflow 0
		.amdhsa_tg_split 0
		.amdhsa_exception_fp_ieee_invalid_op 0
		.amdhsa_exception_fp_denorm_src 0
		.amdhsa_exception_fp_ieee_div_zero 0
		.amdhsa_exception_fp_ieee_overflow 0
		.amdhsa_exception_fp_ieee_underflow 0
		.amdhsa_exception_fp_ieee_inexact 0
		.amdhsa_exception_int_div_zero 0
	.end_amdhsa_kernel
	.section	.text._Z25striped_to_blocked_kernelIyyLj192ELj3EEvPT_PT0_,"axG",@progbits,_Z25striped_to_blocked_kernelIyyLj192ELj3EEvPT_PT0_,comdat
.Lfunc_end24:
	.size	_Z25striped_to_blocked_kernelIyyLj192ELj3EEvPT_PT0_, .Lfunc_end24-_Z25striped_to_blocked_kernelIyyLj192ELj3EEvPT_PT0_
                                        ; -- End function
	.section	.AMDGPU.csdata,"",@progbits
; Kernel info:
; codeLenInByte = 148
; NumSgprs: 11
; NumVgprs: 9
; NumAgprs: 0
; TotalNumVgprs: 9
; ScratchSize: 0
; MemoryBound: 1
; FloatMode: 240
; IeeeMode: 1
; LDSByteSize: 1536 bytes/workgroup (compile time only)
; SGPRBlocks: 1
; VGPRBlocks: 1
; NumSGPRsForWavesPerEU: 11
; NumVGPRsForWavesPerEU: 9
; AccumOffset: 12
; Occupancy: 8
; WaveLimiterHint : 1
; COMPUTE_PGM_RSRC2:SCRATCH_EN: 0
; COMPUTE_PGM_RSRC2:USER_SGPR: 6
; COMPUTE_PGM_RSRC2:TRAP_HANDLER: 0
; COMPUTE_PGM_RSRC2:TGID_X_EN: 1
; COMPUTE_PGM_RSRC2:TGID_Y_EN: 0
; COMPUTE_PGM_RSRC2:TGID_Z_EN: 0
; COMPUTE_PGM_RSRC2:TIDIG_COMP_CNT: 0
; COMPUTE_PGM_RSRC3_GFX90A:ACCUM_OFFSET: 2
; COMPUTE_PGM_RSRC3_GFX90A:TG_SPLIT: 0
	.section	.text._Z25striped_to_blocked_kernelIiiLj384ELj3EEvPT_PT0_,"axG",@progbits,_Z25striped_to_blocked_kernelIiiLj384ELj3EEvPT_PT0_,comdat
	.protected	_Z25striped_to_blocked_kernelIiiLj384ELj3EEvPT_PT0_ ; -- Begin function _Z25striped_to_blocked_kernelIiiLj384ELj3EEvPT_PT0_
	.globl	_Z25striped_to_blocked_kernelIiiLj384ELj3EEvPT_PT0_
	.p2align	8
	.type	_Z25striped_to_blocked_kernelIiiLj384ELj3EEvPT_PT0_,@function
_Z25striped_to_blocked_kernelIiiLj384ELj3EEvPT_PT0_: ; @_Z25striped_to_blocked_kernelIiiLj384ELj3EEvPT_PT0_
; %bb.0:
	s_load_dwordx4 s[0:3], s[4:5], 0x0
	s_mul_i32 s4, s6, 0x180
	s_mov_b32 s5, 0
	s_lshl_b64 s[4:5], s[4:5], 2
	v_mul_u32_u24_e32 v1, 3, v0
	s_waitcnt lgkmcnt(0)
	s_add_u32 s0, s0, s4
	s_addc_u32 s1, s1, s5
	v_lshlrev_b32_e32 v5, 2, v1
	global_load_dwordx3 v[2:4], v5, s[0:1]
	v_lshlrev_b32_e32 v0, 2, v0
	s_add_u32 s0, s2, s4
	s_addc_u32 s1, s3, s5
	s_waitcnt vmcnt(0)
	ds_write2st64_b32 v0, v2, v3 offset1:2
	ds_write_b32 v0, v4 offset:1024
	s_waitcnt lgkmcnt(0)
	s_barrier
	ds_read_b32 v2, v5 offset:8
	ds_read2_b32 v[0:1], v5 offset1:1
	s_waitcnt lgkmcnt(0)
	global_store_dwordx3 v5, v[0:2], s[0:1]
	s_endpgm
	.section	.rodata,"a",@progbits
	.p2align	6, 0x0
	.amdhsa_kernel _Z25striped_to_blocked_kernelIiiLj384ELj3EEvPT_PT0_
		.amdhsa_group_segment_fixed_size 1536
		.amdhsa_private_segment_fixed_size 0
		.amdhsa_kernarg_size 16
		.amdhsa_user_sgpr_count 6
		.amdhsa_user_sgpr_private_segment_buffer 1
		.amdhsa_user_sgpr_dispatch_ptr 0
		.amdhsa_user_sgpr_queue_ptr 0
		.amdhsa_user_sgpr_kernarg_segment_ptr 1
		.amdhsa_user_sgpr_dispatch_id 0
		.amdhsa_user_sgpr_flat_scratch_init 0
		.amdhsa_user_sgpr_kernarg_preload_length 0
		.amdhsa_user_sgpr_kernarg_preload_offset 0
		.amdhsa_user_sgpr_private_segment_size 0
		.amdhsa_uses_dynamic_stack 0
		.amdhsa_system_sgpr_private_segment_wavefront_offset 0
		.amdhsa_system_sgpr_workgroup_id_x 1
		.amdhsa_system_sgpr_workgroup_id_y 0
		.amdhsa_system_sgpr_workgroup_id_z 0
		.amdhsa_system_sgpr_workgroup_info 0
		.amdhsa_system_vgpr_workitem_id 0
		.amdhsa_next_free_vgpr 6
		.amdhsa_next_free_sgpr 7
		.amdhsa_accum_offset 8
		.amdhsa_reserve_vcc 0
		.amdhsa_reserve_flat_scratch 0
		.amdhsa_float_round_mode_32 0
		.amdhsa_float_round_mode_16_64 0
		.amdhsa_float_denorm_mode_32 3
		.amdhsa_float_denorm_mode_16_64 3
		.amdhsa_dx10_clamp 1
		.amdhsa_ieee_mode 1
		.amdhsa_fp16_overflow 0
		.amdhsa_tg_split 0
		.amdhsa_exception_fp_ieee_invalid_op 0
		.amdhsa_exception_fp_denorm_src 0
		.amdhsa_exception_fp_ieee_div_zero 0
		.amdhsa_exception_fp_ieee_overflow 0
		.amdhsa_exception_fp_ieee_underflow 0
		.amdhsa_exception_fp_ieee_inexact 0
		.amdhsa_exception_int_div_zero 0
	.end_amdhsa_kernel
	.section	.text._Z25striped_to_blocked_kernelIiiLj384ELj3EEvPT_PT0_,"axG",@progbits,_Z25striped_to_blocked_kernelIiiLj384ELj3EEvPT_PT0_,comdat
.Lfunc_end25:
	.size	_Z25striped_to_blocked_kernelIiiLj384ELj3EEvPT_PT0_, .Lfunc_end25-_Z25striped_to_blocked_kernelIiiLj384ELj3EEvPT_PT0_
                                        ; -- End function
	.section	.AMDGPU.csdata,"",@progbits
; Kernel info:
; codeLenInByte = 124
; NumSgprs: 11
; NumVgprs: 6
; NumAgprs: 0
; TotalNumVgprs: 6
; ScratchSize: 0
; MemoryBound: 0
; FloatMode: 240
; IeeeMode: 1
; LDSByteSize: 1536 bytes/workgroup (compile time only)
; SGPRBlocks: 1
; VGPRBlocks: 0
; NumSGPRsForWavesPerEU: 11
; NumVGPRsForWavesPerEU: 6
; AccumOffset: 8
; Occupancy: 8
; WaveLimiterHint : 0
; COMPUTE_PGM_RSRC2:SCRATCH_EN: 0
; COMPUTE_PGM_RSRC2:USER_SGPR: 6
; COMPUTE_PGM_RSRC2:TRAP_HANDLER: 0
; COMPUTE_PGM_RSRC2:TGID_X_EN: 1
; COMPUTE_PGM_RSRC2:TGID_Y_EN: 0
; COMPUTE_PGM_RSRC2:TGID_Z_EN: 0
; COMPUTE_PGM_RSRC2:TIDIG_COMP_CNT: 0
; COMPUTE_PGM_RSRC3_GFX90A:ACCUM_OFFSET: 1
; COMPUTE_PGM_RSRC3_GFX90A:TG_SPLIT: 0
	.section	.text._Z25striped_to_blocked_kernelIs5dummyIfELj896ELj7EEvPT_PT0_,"axG",@progbits,_Z25striped_to_blocked_kernelIs5dummyIfELj896ELj7EEvPT_PT0_,comdat
	.protected	_Z25striped_to_blocked_kernelIs5dummyIfELj896ELj7EEvPT_PT0_ ; -- Begin function _Z25striped_to_blocked_kernelIs5dummyIfELj896ELj7EEvPT_PT0_
	.globl	_Z25striped_to_blocked_kernelIs5dummyIfELj896ELj7EEvPT_PT0_
	.p2align	8
	.type	_Z25striped_to_blocked_kernelIs5dummyIfELj896ELj7EEvPT_PT0_,@function
_Z25striped_to_blocked_kernelIs5dummyIfELj896ELj7EEvPT_PT0_: ; @_Z25striped_to_blocked_kernelIs5dummyIfELj896ELj7EEvPT_PT0_
; %bb.0:
	s_load_dwordx4 s[0:3], s[4:5], 0x0
	s_mul_i32 s4, s6, 0x380
	s_mov_b32 s5, 0
	s_lshl_b64 s[6:7], s[4:5], 1
	v_mul_u32_u24_e32 v1, 7, v0
	s_waitcnt lgkmcnt(0)
	s_add_u32 s0, s0, s6
	s_addc_u32 s1, s1, s7
	v_lshlrev_b32_e32 v5, 1, v1
	global_load_dwordx3 v[2:4], v5, s[0:1]
	global_load_ushort v6, v5, s[0:1] offset:12
	v_lshlrev_b32_e32 v0, 1, v0
	v_lshlrev_b32_e32 v14, 3, v1
	v_mov_b32_e32 v7, 1
	s_lshl_b64 s[0:1], s[4:5], 3
	s_add_u32 s0, s2, s0
	s_addc_u32 s1, s3, s1
	s_waitcnt vmcnt(1)
	ds_write_b16 v0, v2
	ds_write_b16_d16_hi v0, v2 offset:256
	ds_write_b16 v0, v3 offset:512
	ds_write_b16_d16_hi v0, v3 offset:768
	ds_write_b16 v0, v4 offset:1024
	ds_write_b16_d16_hi v0, v4 offset:1280
	s_waitcnt vmcnt(0)
	ds_write_b16 v0, v6 offset:1536
	s_waitcnt lgkmcnt(0)
	s_barrier
	ds_read_b96 v[0:2], v5
	ds_read_i16 v3, v5 offset:12
	s_waitcnt lgkmcnt(1)
	v_add_u32_sdwa v4, sext(v0), v7 dst_sel:DWORD dst_unused:UNUSED_PAD src0_sel:WORD_0 src1_sel:DWORD
	v_lshlrev_b32_sdwa v5, v7, sext(v0) dst_sel:DWORD dst_unused:UNUSED_PAD src0_sel:DWORD src1_sel:WORD_0
	v_add_u32_sdwa v6, sext(v0), v7 dst_sel:DWORD dst_unused:UNUSED_PAD src0_sel:WORD_1 src1_sel:DWORD
	v_lshlrev_b32_sdwa v8, v7, sext(v0) dst_sel:DWORD dst_unused:UNUSED_PAD src0_sel:DWORD src1_sel:WORD_1
	v_add_u32_sdwa v9, sext(v1), v7 dst_sel:DWORD dst_unused:UNUSED_PAD src0_sel:WORD_0 src1_sel:DWORD
	v_lshlrev_b32_sdwa v10, v7, sext(v1) dst_sel:DWORD dst_unused:UNUSED_PAD src0_sel:DWORD src1_sel:WORD_0
	v_add_u32_sdwa v11, sext(v1), v7 dst_sel:DWORD dst_unused:UNUSED_PAD src0_sel:WORD_1 src1_sel:DWORD
	v_lshlrev_b32_sdwa v12, v7, sext(v1) dst_sel:DWORD dst_unused:UNUSED_PAD src0_sel:DWORD src1_sel:WORD_1
	;; [unrolled: 4-line block ×3, first 2 shown]
	s_waitcnt lgkmcnt(0)
	v_add_u32_e32 v18, 1, v3
	v_lshlrev_b32_e32 v19, 1, v3
	v_cvt_f32_i32_e32 v1, v5
	v_cvt_f32_i32_e32 v0, v4
	;; [unrolled: 1-line block ×14, first 2 shown]
	global_store_dwordx4 v14, v[0:3], s[0:1]
	global_store_dwordx4 v14, v[4:7], s[0:1] offset:16
	global_store_dwordx4 v14, v[8:11], s[0:1] offset:32
	global_store_dwordx2 v14, v[12:13], s[0:1] offset:48
	s_endpgm
	.section	.rodata,"a",@progbits
	.p2align	6, 0x0
	.amdhsa_kernel _Z25striped_to_blocked_kernelIs5dummyIfELj896ELj7EEvPT_PT0_
		.amdhsa_group_segment_fixed_size 1792
		.amdhsa_private_segment_fixed_size 0
		.amdhsa_kernarg_size 16
		.amdhsa_user_sgpr_count 6
		.amdhsa_user_sgpr_private_segment_buffer 1
		.amdhsa_user_sgpr_dispatch_ptr 0
		.amdhsa_user_sgpr_queue_ptr 0
		.amdhsa_user_sgpr_kernarg_segment_ptr 1
		.amdhsa_user_sgpr_dispatch_id 0
		.amdhsa_user_sgpr_flat_scratch_init 0
		.amdhsa_user_sgpr_kernarg_preload_length 0
		.amdhsa_user_sgpr_kernarg_preload_offset 0
		.amdhsa_user_sgpr_private_segment_size 0
		.amdhsa_uses_dynamic_stack 0
		.amdhsa_system_sgpr_private_segment_wavefront_offset 0
		.amdhsa_system_sgpr_workgroup_id_x 1
		.amdhsa_system_sgpr_workgroup_id_y 0
		.amdhsa_system_sgpr_workgroup_id_z 0
		.amdhsa_system_sgpr_workgroup_info 0
		.amdhsa_system_vgpr_workitem_id 0
		.amdhsa_next_free_vgpr 20
		.amdhsa_next_free_sgpr 8
		.amdhsa_accum_offset 20
		.amdhsa_reserve_vcc 0
		.amdhsa_reserve_flat_scratch 0
		.amdhsa_float_round_mode_32 0
		.amdhsa_float_round_mode_16_64 0
		.amdhsa_float_denorm_mode_32 3
		.amdhsa_float_denorm_mode_16_64 3
		.amdhsa_dx10_clamp 1
		.amdhsa_ieee_mode 1
		.amdhsa_fp16_overflow 0
		.amdhsa_tg_split 0
		.amdhsa_exception_fp_ieee_invalid_op 0
		.amdhsa_exception_fp_denorm_src 0
		.amdhsa_exception_fp_ieee_div_zero 0
		.amdhsa_exception_fp_ieee_overflow 0
		.amdhsa_exception_fp_ieee_underflow 0
		.amdhsa_exception_fp_ieee_inexact 0
		.amdhsa_exception_int_div_zero 0
	.end_amdhsa_kernel
	.section	.text._Z25striped_to_blocked_kernelIs5dummyIfELj896ELj7EEvPT_PT0_,"axG",@progbits,_Z25striped_to_blocked_kernelIs5dummyIfELj896ELj7EEvPT_PT0_,comdat
.Lfunc_end26:
	.size	_Z25striped_to_blocked_kernelIs5dummyIfELj896ELj7EEvPT_PT0_, .Lfunc_end26-_Z25striped_to_blocked_kernelIs5dummyIfELj896ELj7EEvPT_PT0_
                                        ; -- End function
	.section	.AMDGPU.csdata,"",@progbits
; Kernel info:
; codeLenInByte = 376
; NumSgprs: 12
; NumVgprs: 20
; NumAgprs: 0
; TotalNumVgprs: 20
; ScratchSize: 0
; MemoryBound: 0
; FloatMode: 240
; IeeeMode: 1
; LDSByteSize: 1792 bytes/workgroup (compile time only)
; SGPRBlocks: 1
; VGPRBlocks: 2
; NumSGPRsForWavesPerEU: 12
; NumVGPRsForWavesPerEU: 20
; AccumOffset: 20
; Occupancy: 8
; WaveLimiterHint : 0
; COMPUTE_PGM_RSRC2:SCRATCH_EN: 0
; COMPUTE_PGM_RSRC2:USER_SGPR: 6
; COMPUTE_PGM_RSRC2:TRAP_HANDLER: 0
; COMPUTE_PGM_RSRC2:TGID_X_EN: 1
; COMPUTE_PGM_RSRC2:TGID_Y_EN: 0
; COMPUTE_PGM_RSRC2:TGID_Z_EN: 0
; COMPUTE_PGM_RSRC2:TIDIG_COMP_CNT: 0
; COMPUTE_PGM_RSRC3_GFX90A:ACCUM_OFFSET: 4
; COMPUTE_PGM_RSRC3_GFX90A:TG_SPLIT: 0
	.section	.text._Z25striped_to_blocked_kernelIiiLj2560ELj5EEvPT_PT0_,"axG",@progbits,_Z25striped_to_blocked_kernelIiiLj2560ELj5EEvPT_PT0_,comdat
	.protected	_Z25striped_to_blocked_kernelIiiLj2560ELj5EEvPT_PT0_ ; -- Begin function _Z25striped_to_blocked_kernelIiiLj2560ELj5EEvPT_PT0_
	.globl	_Z25striped_to_blocked_kernelIiiLj2560ELj5EEvPT_PT0_
	.p2align	8
	.type	_Z25striped_to_blocked_kernelIiiLj2560ELj5EEvPT_PT0_,@function
_Z25striped_to_blocked_kernelIiiLj2560ELj5EEvPT_PT0_: ; @_Z25striped_to_blocked_kernelIiiLj2560ELj5EEvPT_PT0_
; %bb.0:
	s_load_dwordx4 s[0:3], s[4:5], 0x0
	s_mul_i32 s4, s6, 0xa00
	s_mov_b32 s5, 0
	s_lshl_b64 s[4:5], s[4:5], 2
	v_mul_u32_u24_e32 v1, 5, v0
	s_waitcnt lgkmcnt(0)
	s_add_u32 s0, s0, s4
	s_addc_u32 s1, s1, s5
	v_lshlrev_b32_e32 v6, 2, v1
	global_load_dwordx4 v[2:5], v6, s[0:1]
	global_load_dword v1, v6, s[0:1] offset:16
	v_lshlrev_b32_e32 v0, 2, v0
	s_add_u32 s0, s2, s4
	s_addc_u32 s1, s3, s5
	s_waitcnt vmcnt(1)
	ds_write2st64_b32 v0, v2, v3 offset1:8
	ds_write2st64_b32 v0, v4, v5 offset0:16 offset1:24
	s_waitcnt vmcnt(0)
	ds_write_b32 v0, v1 offset:8192
	s_waitcnt lgkmcnt(0)
	s_barrier
	ds_read2_b32 v[0:1], v6 offset1:1
	ds_read2_b32 v[2:3], v6 offset0:2 offset1:3
	ds_read_b32 v4, v6 offset:16
	s_waitcnt lgkmcnt(1)
	global_store_dwordx4 v6, v[0:3], s[0:1]
	s_waitcnt lgkmcnt(0)
	global_store_dword v6, v4, s[0:1] offset:16
	s_endpgm
	.section	.rodata,"a",@progbits
	.p2align	6, 0x0
	.amdhsa_kernel _Z25striped_to_blocked_kernelIiiLj2560ELj5EEvPT_PT0_
		.amdhsa_group_segment_fixed_size 10240
		.amdhsa_private_segment_fixed_size 0
		.amdhsa_kernarg_size 16
		.amdhsa_user_sgpr_count 6
		.amdhsa_user_sgpr_private_segment_buffer 1
		.amdhsa_user_sgpr_dispatch_ptr 0
		.amdhsa_user_sgpr_queue_ptr 0
		.amdhsa_user_sgpr_kernarg_segment_ptr 1
		.amdhsa_user_sgpr_dispatch_id 0
		.amdhsa_user_sgpr_flat_scratch_init 0
		.amdhsa_user_sgpr_kernarg_preload_length 0
		.amdhsa_user_sgpr_kernarg_preload_offset 0
		.amdhsa_user_sgpr_private_segment_size 0
		.amdhsa_uses_dynamic_stack 0
		.amdhsa_system_sgpr_private_segment_wavefront_offset 0
		.amdhsa_system_sgpr_workgroup_id_x 1
		.amdhsa_system_sgpr_workgroup_id_y 0
		.amdhsa_system_sgpr_workgroup_id_z 0
		.amdhsa_system_sgpr_workgroup_info 0
		.amdhsa_system_vgpr_workitem_id 0
		.amdhsa_next_free_vgpr 7
		.amdhsa_next_free_sgpr 7
		.amdhsa_accum_offset 8
		.amdhsa_reserve_vcc 0
		.amdhsa_reserve_flat_scratch 0
		.amdhsa_float_round_mode_32 0
		.amdhsa_float_round_mode_16_64 0
		.amdhsa_float_denorm_mode_32 3
		.amdhsa_float_denorm_mode_16_64 3
		.amdhsa_dx10_clamp 1
		.amdhsa_ieee_mode 1
		.amdhsa_fp16_overflow 0
		.amdhsa_tg_split 0
		.amdhsa_exception_fp_ieee_invalid_op 0
		.amdhsa_exception_fp_denorm_src 0
		.amdhsa_exception_fp_ieee_div_zero 0
		.amdhsa_exception_fp_ieee_overflow 0
		.amdhsa_exception_fp_ieee_underflow 0
		.amdhsa_exception_fp_ieee_inexact 0
		.amdhsa_exception_int_div_zero 0
	.end_amdhsa_kernel
	.section	.text._Z25striped_to_blocked_kernelIiiLj2560ELj5EEvPT_PT0_,"axG",@progbits,_Z25striped_to_blocked_kernelIiiLj2560ELj5EEvPT_PT0_,comdat
.Lfunc_end27:
	.size	_Z25striped_to_blocked_kernelIiiLj2560ELj5EEvPT_PT0_, .Lfunc_end27-_Z25striped_to_blocked_kernelIiiLj2560ELj5EEvPT_PT0_
                                        ; -- End function
	.section	.AMDGPU.csdata,"",@progbits
; Kernel info:
; codeLenInByte = 164
; NumSgprs: 11
; NumVgprs: 7
; NumAgprs: 0
; TotalNumVgprs: 7
; ScratchSize: 0
; MemoryBound: 0
; FloatMode: 240
; IeeeMode: 1
; LDSByteSize: 10240 bytes/workgroup (compile time only)
; SGPRBlocks: 1
; VGPRBlocks: 0
; NumSGPRsForWavesPerEU: 11
; NumVGPRsForWavesPerEU: 7
; AccumOffset: 8
; Occupancy: 8
; WaveLimiterHint : 0
; COMPUTE_PGM_RSRC2:SCRATCH_EN: 0
; COMPUTE_PGM_RSRC2:USER_SGPR: 6
; COMPUTE_PGM_RSRC2:TRAP_HANDLER: 0
; COMPUTE_PGM_RSRC2:TGID_X_EN: 1
; COMPUTE_PGM_RSRC2:TGID_Y_EN: 0
; COMPUTE_PGM_RSRC2:TGID_Z_EN: 0
; COMPUTE_PGM_RSRC2:TIDIG_COMP_CNT: 0
; COMPUTE_PGM_RSRC3_GFX90A:ACCUM_OFFSET: 1
; COMPUTE_PGM_RSRC3_GFX90A:TG_SPLIT: 0
	.section	.text._Z25striped_to_blocked_kernelIxxLj1024ELj4EEvPT_PT0_,"axG",@progbits,_Z25striped_to_blocked_kernelIxxLj1024ELj4EEvPT_PT0_,comdat
	.protected	_Z25striped_to_blocked_kernelIxxLj1024ELj4EEvPT_PT0_ ; -- Begin function _Z25striped_to_blocked_kernelIxxLj1024ELj4EEvPT_PT0_
	.globl	_Z25striped_to_blocked_kernelIxxLj1024ELj4EEvPT_PT0_
	.p2align	8
	.type	_Z25striped_to_blocked_kernelIxxLj1024ELj4EEvPT_PT0_,@function
_Z25striped_to_blocked_kernelIxxLj1024ELj4EEvPT_PT0_: ; @_Z25striped_to_blocked_kernelIxxLj1024ELj4EEvPT_PT0_
; %bb.0:
	s_load_dwordx4 s[0:3], s[4:5], 0x0
	s_lshl_b32 s4, s6, 10
	s_mov_b32 s5, 0
	s_lshl_b64 s[4:5], s[4:5], 3
	v_lshlrev_b32_e32 v10, 5, v0
	s_waitcnt lgkmcnt(0)
	s_add_u32 s0, s0, s4
	s_addc_u32 s1, s1, s5
	global_load_dwordx4 v[2:5], v10, s[0:1]
	global_load_dwordx4 v[6:9], v10, s[0:1] offset:16
	v_add_u32_e32 v12, 0x100, v0
	v_or_b32_e32 v13, 0x200, v0
	v_add_u32_e32 v14, 0x300, v0
	v_lshlrev_b32_e32 v1, 2, v0
	v_lshrrev_b32_e32 v11, 5, v0
	v_lshrrev_b32_e32 v15, 3, v0
	;; [unrolled: 1-line block ×5, first 2 shown]
	v_add_lshl_u32 v11, v11, v0, 3
	v_add_lshl_u32 v15, v15, v1, 3
	;; [unrolled: 1-line block ×5, first 2 shown]
	s_add_u32 s0, s2, s4
	s_addc_u32 s1, s3, s5
	s_waitcnt vmcnt(1)
	ds_write_b64 v11, v[2:3]
	ds_write_b64 v1, v[4:5] offset:2048
	s_waitcnt vmcnt(0)
	ds_write_b64 v12, v[6:7] offset:4096
	ds_write_b64 v0, v[8:9] offset:6144
	s_waitcnt lgkmcnt(0)
	s_barrier
	ds_read2_b64 v[0:3], v15 offset1:1
	ds_read2_b64 v[4:7], v15 offset0:2 offset1:3
	s_waitcnt lgkmcnt(1)
	global_store_dwordx4 v10, v[0:3], s[0:1]
	s_waitcnt lgkmcnt(0)
	global_store_dwordx4 v10, v[4:7], s[0:1] offset:16
	s_endpgm
	.section	.rodata,"a",@progbits
	.p2align	6, 0x0
	.amdhsa_kernel _Z25striped_to_blocked_kernelIxxLj1024ELj4EEvPT_PT0_
		.amdhsa_group_segment_fixed_size 8448
		.amdhsa_private_segment_fixed_size 0
		.amdhsa_kernarg_size 16
		.amdhsa_user_sgpr_count 6
		.amdhsa_user_sgpr_private_segment_buffer 1
		.amdhsa_user_sgpr_dispatch_ptr 0
		.amdhsa_user_sgpr_queue_ptr 0
		.amdhsa_user_sgpr_kernarg_segment_ptr 1
		.amdhsa_user_sgpr_dispatch_id 0
		.amdhsa_user_sgpr_flat_scratch_init 0
		.amdhsa_user_sgpr_kernarg_preload_length 0
		.amdhsa_user_sgpr_kernarg_preload_offset 0
		.amdhsa_user_sgpr_private_segment_size 0
		.amdhsa_uses_dynamic_stack 0
		.amdhsa_system_sgpr_private_segment_wavefront_offset 0
		.amdhsa_system_sgpr_workgroup_id_x 1
		.amdhsa_system_sgpr_workgroup_id_y 0
		.amdhsa_system_sgpr_workgroup_id_z 0
		.amdhsa_system_sgpr_workgroup_info 0
		.amdhsa_system_vgpr_workitem_id 0
		.amdhsa_next_free_vgpr 16
		.amdhsa_next_free_sgpr 7
		.amdhsa_accum_offset 16
		.amdhsa_reserve_vcc 0
		.amdhsa_reserve_flat_scratch 0
		.amdhsa_float_round_mode_32 0
		.amdhsa_float_round_mode_16_64 0
		.amdhsa_float_denorm_mode_32 3
		.amdhsa_float_denorm_mode_16_64 3
		.amdhsa_dx10_clamp 1
		.amdhsa_ieee_mode 1
		.amdhsa_fp16_overflow 0
		.amdhsa_tg_split 0
		.amdhsa_exception_fp_ieee_invalid_op 0
		.amdhsa_exception_fp_denorm_src 0
		.amdhsa_exception_fp_ieee_div_zero 0
		.amdhsa_exception_fp_ieee_overflow 0
		.amdhsa_exception_fp_ieee_underflow 0
		.amdhsa_exception_fp_ieee_inexact 0
		.amdhsa_exception_int_div_zero 0
	.end_amdhsa_kernel
	.section	.text._Z25striped_to_blocked_kernelIxxLj1024ELj4EEvPT_PT0_,"axG",@progbits,_Z25striped_to_blocked_kernelIxxLj1024ELj4EEvPT_PT0_,comdat
.Lfunc_end28:
	.size	_Z25striped_to_blocked_kernelIxxLj1024ELj4EEvPT_PT0_, .Lfunc_end28-_Z25striped_to_blocked_kernelIxxLj1024ELj4EEvPT_PT0_
                                        ; -- End function
	.section	.AMDGPU.csdata,"",@progbits
; Kernel info:
; codeLenInByte = 240
; NumSgprs: 11
; NumVgprs: 16
; NumAgprs: 0
; TotalNumVgprs: 16
; ScratchSize: 0
; MemoryBound: 0
; FloatMode: 240
; IeeeMode: 1
; LDSByteSize: 8448 bytes/workgroup (compile time only)
; SGPRBlocks: 1
; VGPRBlocks: 1
; NumSGPRsForWavesPerEU: 11
; NumVGPRsForWavesPerEU: 16
; AccumOffset: 16
; Occupancy: 8
; WaveLimiterHint : 0
; COMPUTE_PGM_RSRC2:SCRATCH_EN: 0
; COMPUTE_PGM_RSRC2:USER_SGPR: 6
; COMPUTE_PGM_RSRC2:TRAP_HANDLER: 0
; COMPUTE_PGM_RSRC2:TGID_X_EN: 1
; COMPUTE_PGM_RSRC2:TGID_Y_EN: 0
; COMPUTE_PGM_RSRC2:TGID_Z_EN: 0
; COMPUTE_PGM_RSRC2:TIDIG_COMP_CNT: 0
; COMPUTE_PGM_RSRC3_GFX90A:ACCUM_OFFSET: 3
; COMPUTE_PGM_RSRC3_GFX90A:TG_SPLIT: 0
	.section	.text._Z25striped_to_blocked_kernelIiiLj128ELj2EEvPT_PT0_,"axG",@progbits,_Z25striped_to_blocked_kernelIiiLj128ELj2EEvPT_PT0_,comdat
	.protected	_Z25striped_to_blocked_kernelIiiLj128ELj2EEvPT_PT0_ ; -- Begin function _Z25striped_to_blocked_kernelIiiLj128ELj2EEvPT_PT0_
	.globl	_Z25striped_to_blocked_kernelIiiLj128ELj2EEvPT_PT0_
	.p2align	8
	.type	_Z25striped_to_blocked_kernelIiiLj128ELj2EEvPT_PT0_,@function
_Z25striped_to_blocked_kernelIiiLj128ELj2EEvPT_PT0_: ; @_Z25striped_to_blocked_kernelIiiLj128ELj2EEvPT_PT0_
; %bb.0:
	s_load_dwordx4 s[0:3], s[4:5], 0x0
	s_lshl_b32 s4, s6, 7
	s_mov_b32 s5, 0
	s_lshl_b64 s[4:5], s[4:5], 2
	v_lshlrev_b32_e32 v4, 3, v0
	s_waitcnt lgkmcnt(0)
	s_add_u32 s0, s0, s4
	s_addc_u32 s1, s1, s5
	global_load_dwordx2 v[2:3], v4, s[0:1]
	v_add_u32_e32 v6, 64, v0
	v_lshlrev_b32_e32 v1, 1, v0
	v_lshrrev_b32_e32 v5, 5, v0
	v_lshrrev_b32_e32 v7, 4, v0
	;; [unrolled: 1-line block ×3, first 2 shown]
	v_add_lshl_u32 v5, v5, v0, 2
	v_add_lshl_u32 v1, v7, v1, 2
	;; [unrolled: 1-line block ×3, first 2 shown]
	s_add_u32 s0, s2, s4
	s_addc_u32 s1, s3, s5
	s_waitcnt vmcnt(0)
	ds_write_b32 v5, v2
	ds_write_b32 v0, v3 offset:256
	s_waitcnt lgkmcnt(0)
	s_barrier
	ds_read2_b32 v[0:1], v1 offset1:1
	s_waitcnt lgkmcnt(0)
	global_store_dwordx2 v4, v[0:1], s[0:1]
	s_endpgm
	.section	.rodata,"a",@progbits
	.p2align	6, 0x0
	.amdhsa_kernel _Z25striped_to_blocked_kernelIiiLj128ELj2EEvPT_PT0_
		.amdhsa_group_segment_fixed_size 528
		.amdhsa_private_segment_fixed_size 0
		.amdhsa_kernarg_size 16
		.amdhsa_user_sgpr_count 6
		.amdhsa_user_sgpr_private_segment_buffer 1
		.amdhsa_user_sgpr_dispatch_ptr 0
		.amdhsa_user_sgpr_queue_ptr 0
		.amdhsa_user_sgpr_kernarg_segment_ptr 1
		.amdhsa_user_sgpr_dispatch_id 0
		.amdhsa_user_sgpr_flat_scratch_init 0
		.amdhsa_user_sgpr_kernarg_preload_length 0
		.amdhsa_user_sgpr_kernarg_preload_offset 0
		.amdhsa_user_sgpr_private_segment_size 0
		.amdhsa_uses_dynamic_stack 0
		.amdhsa_system_sgpr_private_segment_wavefront_offset 0
		.amdhsa_system_sgpr_workgroup_id_x 1
		.amdhsa_system_sgpr_workgroup_id_y 0
		.amdhsa_system_sgpr_workgroup_id_z 0
		.amdhsa_system_sgpr_workgroup_info 0
		.amdhsa_system_vgpr_workitem_id 0
		.amdhsa_next_free_vgpr 8
		.amdhsa_next_free_sgpr 7
		.amdhsa_accum_offset 8
		.amdhsa_reserve_vcc 0
		.amdhsa_reserve_flat_scratch 0
		.amdhsa_float_round_mode_32 0
		.amdhsa_float_round_mode_16_64 0
		.amdhsa_float_denorm_mode_32 3
		.amdhsa_float_denorm_mode_16_64 3
		.amdhsa_dx10_clamp 1
		.amdhsa_ieee_mode 1
		.amdhsa_fp16_overflow 0
		.amdhsa_tg_split 0
		.amdhsa_exception_fp_ieee_invalid_op 0
		.amdhsa_exception_fp_denorm_src 0
		.amdhsa_exception_fp_ieee_div_zero 0
		.amdhsa_exception_fp_ieee_overflow 0
		.amdhsa_exception_fp_ieee_underflow 0
		.amdhsa_exception_fp_ieee_inexact 0
		.amdhsa_exception_int_div_zero 0
	.end_amdhsa_kernel
	.section	.text._Z25striped_to_blocked_kernelIiiLj128ELj2EEvPT_PT0_,"axG",@progbits,_Z25striped_to_blocked_kernelIiiLj128ELj2EEvPT_PT0_,comdat
.Lfunc_end29:
	.size	_Z25striped_to_blocked_kernelIiiLj128ELj2EEvPT_PT0_, .Lfunc_end29-_Z25striped_to_blocked_kernelIiiLj128ELj2EEvPT_PT0_
                                        ; -- End function
	.section	.AMDGPU.csdata,"",@progbits
; Kernel info:
; codeLenInByte = 148
; NumSgprs: 11
; NumVgprs: 8
; NumAgprs: 0
; TotalNumVgprs: 8
; ScratchSize: 0
; MemoryBound: 0
; FloatMode: 240
; IeeeMode: 1
; LDSByteSize: 528 bytes/workgroup (compile time only)
; SGPRBlocks: 1
; VGPRBlocks: 0
; NumSGPRsForWavesPerEU: 11
; NumVGPRsForWavesPerEU: 8
; AccumOffset: 8
; Occupancy: 8
; WaveLimiterHint : 0
; COMPUTE_PGM_RSRC2:SCRATCH_EN: 0
; COMPUTE_PGM_RSRC2:USER_SGPR: 6
; COMPUTE_PGM_RSRC2:TRAP_HANDLER: 0
; COMPUTE_PGM_RSRC2:TGID_X_EN: 1
; COMPUTE_PGM_RSRC2:TGID_Y_EN: 0
; COMPUTE_PGM_RSRC2:TGID_Z_EN: 0
; COMPUTE_PGM_RSRC2:TIDIG_COMP_CNT: 0
; COMPUTE_PGM_RSRC3_GFX90A:ACCUM_OFFSET: 1
; COMPUTE_PGM_RSRC3_GFX90A:TG_SPLIT: 0
	.section	.text._Z25striped_to_blocked_kernelIxxLj512ELj1EEvPT_PT0_,"axG",@progbits,_Z25striped_to_blocked_kernelIxxLj512ELj1EEvPT_PT0_,comdat
	.protected	_Z25striped_to_blocked_kernelIxxLj512ELj1EEvPT_PT0_ ; -- Begin function _Z25striped_to_blocked_kernelIxxLj512ELj1EEvPT_PT0_
	.globl	_Z25striped_to_blocked_kernelIxxLj512ELj1EEvPT_PT0_
	.p2align	8
	.type	_Z25striped_to_blocked_kernelIxxLj512ELj1EEvPT_PT0_,@function
_Z25striped_to_blocked_kernelIxxLj512ELj1EEvPT_PT0_: ; @_Z25striped_to_blocked_kernelIxxLj512ELj1EEvPT_PT0_
; %bb.0:
	s_load_dwordx4 s[0:3], s[4:5], 0x0
	s_lshl_b32 s4, s6, 9
	s_mov_b32 s5, 0
	s_lshl_b64 s[4:5], s[4:5], 3
	v_lshlrev_b32_e32 v2, 3, v0
	s_waitcnt lgkmcnt(0)
	s_add_u32 s0, s0, s4
	s_addc_u32 s1, s1, s5
	global_load_dwordx2 v[0:1], v2, s[0:1]
	s_add_u32 s0, s2, s4
	s_addc_u32 s1, s3, s5
	s_waitcnt vmcnt(0)
	ds_write_b64 v2, v[0:1]
	s_waitcnt lgkmcnt(0)
	s_barrier
	ds_read_b64 v[0:1], v2
	s_waitcnt lgkmcnt(0)
	global_store_dwordx2 v2, v[0:1], s[0:1]
	s_endpgm
	.section	.rodata,"a",@progbits
	.p2align	6, 0x0
	.amdhsa_kernel _Z25striped_to_blocked_kernelIxxLj512ELj1EEvPT_PT0_
		.amdhsa_group_segment_fixed_size 4096
		.amdhsa_private_segment_fixed_size 0
		.amdhsa_kernarg_size 16
		.amdhsa_user_sgpr_count 6
		.amdhsa_user_sgpr_private_segment_buffer 1
		.amdhsa_user_sgpr_dispatch_ptr 0
		.amdhsa_user_sgpr_queue_ptr 0
		.amdhsa_user_sgpr_kernarg_segment_ptr 1
		.amdhsa_user_sgpr_dispatch_id 0
		.amdhsa_user_sgpr_flat_scratch_init 0
		.amdhsa_user_sgpr_kernarg_preload_length 0
		.amdhsa_user_sgpr_kernarg_preload_offset 0
		.amdhsa_user_sgpr_private_segment_size 0
		.amdhsa_uses_dynamic_stack 0
		.amdhsa_system_sgpr_private_segment_wavefront_offset 0
		.amdhsa_system_sgpr_workgroup_id_x 1
		.amdhsa_system_sgpr_workgroup_id_y 0
		.amdhsa_system_sgpr_workgroup_id_z 0
		.amdhsa_system_sgpr_workgroup_info 0
		.amdhsa_system_vgpr_workitem_id 0
		.amdhsa_next_free_vgpr 3
		.amdhsa_next_free_sgpr 7
		.amdhsa_accum_offset 4
		.amdhsa_reserve_vcc 0
		.amdhsa_reserve_flat_scratch 0
		.amdhsa_float_round_mode_32 0
		.amdhsa_float_round_mode_16_64 0
		.amdhsa_float_denorm_mode_32 3
		.amdhsa_float_denorm_mode_16_64 3
		.amdhsa_dx10_clamp 1
		.amdhsa_ieee_mode 1
		.amdhsa_fp16_overflow 0
		.amdhsa_tg_split 0
		.amdhsa_exception_fp_ieee_invalid_op 0
		.amdhsa_exception_fp_denorm_src 0
		.amdhsa_exception_fp_ieee_div_zero 0
		.amdhsa_exception_fp_ieee_overflow 0
		.amdhsa_exception_fp_ieee_underflow 0
		.amdhsa_exception_fp_ieee_inexact 0
		.amdhsa_exception_int_div_zero 0
	.end_amdhsa_kernel
	.section	.text._Z25striped_to_blocked_kernelIxxLj512ELj1EEvPT_PT0_,"axG",@progbits,_Z25striped_to_blocked_kernelIxxLj512ELj1EEvPT_PT0_,comdat
.Lfunc_end30:
	.size	_Z25striped_to_blocked_kernelIxxLj512ELj1EEvPT_PT0_, .Lfunc_end30-_Z25striped_to_blocked_kernelIxxLj512ELj1EEvPT_PT0_
                                        ; -- End function
	.section	.AMDGPU.csdata,"",@progbits
; Kernel info:
; codeLenInByte = 96
; NumSgprs: 11
; NumVgprs: 3
; NumAgprs: 0
; TotalNumVgprs: 3
; ScratchSize: 0
; MemoryBound: 0
; FloatMode: 240
; IeeeMode: 1
; LDSByteSize: 4096 bytes/workgroup (compile time only)
; SGPRBlocks: 1
; VGPRBlocks: 0
; NumSGPRsForWavesPerEU: 11
; NumVGPRsForWavesPerEU: 3
; AccumOffset: 4
; Occupancy: 8
; WaveLimiterHint : 0
; COMPUTE_PGM_RSRC2:SCRATCH_EN: 0
; COMPUTE_PGM_RSRC2:USER_SGPR: 6
; COMPUTE_PGM_RSRC2:TRAP_HANDLER: 0
; COMPUTE_PGM_RSRC2:TGID_X_EN: 1
; COMPUTE_PGM_RSRC2:TGID_Y_EN: 0
; COMPUTE_PGM_RSRC2:TGID_Z_EN: 0
; COMPUTE_PGM_RSRC2:TIDIG_COMP_CNT: 0
; COMPUTE_PGM_RSRC3_GFX90A:ACCUM_OFFSET: 0
; COMPUTE_PGM_RSRC3_GFX90A:TG_SPLIT: 0
	.section	.text._Z25striped_to_blocked_kernelIs5dummyIiELj256ELj1EEvPT_PT0_,"axG",@progbits,_Z25striped_to_blocked_kernelIs5dummyIiELj256ELj1EEvPT_PT0_,comdat
	.protected	_Z25striped_to_blocked_kernelIs5dummyIiELj256ELj1EEvPT_PT0_ ; -- Begin function _Z25striped_to_blocked_kernelIs5dummyIiELj256ELj1EEvPT_PT0_
	.globl	_Z25striped_to_blocked_kernelIs5dummyIiELj256ELj1EEvPT_PT0_
	.p2align	8
	.type	_Z25striped_to_blocked_kernelIs5dummyIiELj256ELj1EEvPT_PT0_,@function
_Z25striped_to_blocked_kernelIs5dummyIiELj256ELj1EEvPT_PT0_: ; @_Z25striped_to_blocked_kernelIs5dummyIiELj256ELj1EEvPT_PT0_
; %bb.0:
	s_load_dwordx4 s[0:3], s[4:5], 0x0
	s_lshl_b32 s4, s6, 8
	s_mov_b32 s5, 0
	s_lshl_b64 s[6:7], s[4:5], 1
	v_lshlrev_b32_e32 v1, 1, v0
	s_waitcnt lgkmcnt(0)
	s_add_u32 s0, s0, s6
	s_addc_u32 s1, s1, s7
	global_load_ushort v2, v1, s[0:1]
	s_lshl_b64 s[0:1], s[4:5], 3
	s_add_u32 s0, s2, s0
	s_addc_u32 s1, s3, s1
	v_lshlrev_b32_e32 v0, 3, v0
	s_waitcnt vmcnt(0)
	ds_write_b16 v1, v2
	s_waitcnt lgkmcnt(0)
	s_barrier
	ds_read_i16 v1, v1
	s_waitcnt lgkmcnt(0)
	v_lshlrev_b32_e32 v3, 1, v1
	v_add_u32_e32 v2, 1, v1
	global_store_dwordx2 v0, v[2:3], s[0:1]
	s_endpgm
	.section	.rodata,"a",@progbits
	.p2align	6, 0x0
	.amdhsa_kernel _Z25striped_to_blocked_kernelIs5dummyIiELj256ELj1EEvPT_PT0_
		.amdhsa_group_segment_fixed_size 512
		.amdhsa_private_segment_fixed_size 0
		.amdhsa_kernarg_size 16
		.amdhsa_user_sgpr_count 6
		.amdhsa_user_sgpr_private_segment_buffer 1
		.amdhsa_user_sgpr_dispatch_ptr 0
		.amdhsa_user_sgpr_queue_ptr 0
		.amdhsa_user_sgpr_kernarg_segment_ptr 1
		.amdhsa_user_sgpr_dispatch_id 0
		.amdhsa_user_sgpr_flat_scratch_init 0
		.amdhsa_user_sgpr_kernarg_preload_length 0
		.amdhsa_user_sgpr_kernarg_preload_offset 0
		.amdhsa_user_sgpr_private_segment_size 0
		.amdhsa_uses_dynamic_stack 0
		.amdhsa_system_sgpr_private_segment_wavefront_offset 0
		.amdhsa_system_sgpr_workgroup_id_x 1
		.amdhsa_system_sgpr_workgroup_id_y 0
		.amdhsa_system_sgpr_workgroup_id_z 0
		.amdhsa_system_sgpr_workgroup_info 0
		.amdhsa_system_vgpr_workitem_id 0
		.amdhsa_next_free_vgpr 4
		.amdhsa_next_free_sgpr 8
		.amdhsa_accum_offset 4
		.amdhsa_reserve_vcc 0
		.amdhsa_reserve_flat_scratch 0
		.amdhsa_float_round_mode_32 0
		.amdhsa_float_round_mode_16_64 0
		.amdhsa_float_denorm_mode_32 3
		.amdhsa_float_denorm_mode_16_64 3
		.amdhsa_dx10_clamp 1
		.amdhsa_ieee_mode 1
		.amdhsa_fp16_overflow 0
		.amdhsa_tg_split 0
		.amdhsa_exception_fp_ieee_invalid_op 0
		.amdhsa_exception_fp_denorm_src 0
		.amdhsa_exception_fp_ieee_div_zero 0
		.amdhsa_exception_fp_ieee_overflow 0
		.amdhsa_exception_fp_ieee_underflow 0
		.amdhsa_exception_fp_ieee_inexact 0
		.amdhsa_exception_int_div_zero 0
	.end_amdhsa_kernel
	.section	.text._Z25striped_to_blocked_kernelIs5dummyIiELj256ELj1EEvPT_PT0_,"axG",@progbits,_Z25striped_to_blocked_kernelIs5dummyIiELj256ELj1EEvPT_PT0_,comdat
.Lfunc_end31:
	.size	_Z25striped_to_blocked_kernelIs5dummyIiELj256ELj1EEvPT_PT0_, .Lfunc_end31-_Z25striped_to_blocked_kernelIs5dummyIiELj256ELj1EEvPT_PT0_
                                        ; -- End function
	.section	.AMDGPU.csdata,"",@progbits
; Kernel info:
; codeLenInByte = 112
; NumSgprs: 12
; NumVgprs: 4
; NumAgprs: 0
; TotalNumVgprs: 4
; ScratchSize: 0
; MemoryBound: 0
; FloatMode: 240
; IeeeMode: 1
; LDSByteSize: 512 bytes/workgroup (compile time only)
; SGPRBlocks: 1
; VGPRBlocks: 0
; NumSGPRsForWavesPerEU: 12
; NumVGPRsForWavesPerEU: 4
; AccumOffset: 4
; Occupancy: 8
; WaveLimiterHint : 0
; COMPUTE_PGM_RSRC2:SCRATCH_EN: 0
; COMPUTE_PGM_RSRC2:USER_SGPR: 6
; COMPUTE_PGM_RSRC2:TRAP_HANDLER: 0
; COMPUTE_PGM_RSRC2:TGID_X_EN: 1
; COMPUTE_PGM_RSRC2:TGID_Y_EN: 0
; COMPUTE_PGM_RSRC2:TGID_Z_EN: 0
; COMPUTE_PGM_RSRC2:TIDIG_COMP_CNT: 0
; COMPUTE_PGM_RSRC3_GFX90A:ACCUM_OFFSET: 0
; COMPUTE_PGM_RSRC3_GFX90A:TG_SPLIT: 0
	.section	.text._Z25striped_to_blocked_kernelIyyLj128ELj1EEvPT_PT0_,"axG",@progbits,_Z25striped_to_blocked_kernelIyyLj128ELj1EEvPT_PT0_,comdat
	.protected	_Z25striped_to_blocked_kernelIyyLj128ELj1EEvPT_PT0_ ; -- Begin function _Z25striped_to_blocked_kernelIyyLj128ELj1EEvPT_PT0_
	.globl	_Z25striped_to_blocked_kernelIyyLj128ELj1EEvPT_PT0_
	.p2align	8
	.type	_Z25striped_to_blocked_kernelIyyLj128ELj1EEvPT_PT0_,@function
_Z25striped_to_blocked_kernelIyyLj128ELj1EEvPT_PT0_: ; @_Z25striped_to_blocked_kernelIyyLj128ELj1EEvPT_PT0_
; %bb.0:
	s_load_dwordx4 s[0:3], s[4:5], 0x0
	s_lshl_b32 s4, s6, 7
	s_mov_b32 s5, 0
	s_lshl_b64 s[4:5], s[4:5], 3
	v_lshlrev_b32_e32 v2, 3, v0
	s_waitcnt lgkmcnt(0)
	s_add_u32 s0, s0, s4
	s_addc_u32 s1, s1, s5
	global_load_dwordx2 v[0:1], v2, s[0:1]
	s_add_u32 s0, s2, s4
	s_addc_u32 s1, s3, s5
	s_waitcnt vmcnt(0)
	ds_write_b64 v2, v[0:1]
	s_waitcnt lgkmcnt(0)
	s_barrier
	ds_read_b64 v[0:1], v2
	s_waitcnt lgkmcnt(0)
	global_store_dwordx2 v2, v[0:1], s[0:1]
	s_endpgm
	.section	.rodata,"a",@progbits
	.p2align	6, 0x0
	.amdhsa_kernel _Z25striped_to_blocked_kernelIyyLj128ELj1EEvPT_PT0_
		.amdhsa_group_segment_fixed_size 1024
		.amdhsa_private_segment_fixed_size 0
		.amdhsa_kernarg_size 16
		.amdhsa_user_sgpr_count 6
		.amdhsa_user_sgpr_private_segment_buffer 1
		.amdhsa_user_sgpr_dispatch_ptr 0
		.amdhsa_user_sgpr_queue_ptr 0
		.amdhsa_user_sgpr_kernarg_segment_ptr 1
		.amdhsa_user_sgpr_dispatch_id 0
		.amdhsa_user_sgpr_flat_scratch_init 0
		.amdhsa_user_sgpr_kernarg_preload_length 0
		.amdhsa_user_sgpr_kernarg_preload_offset 0
		.amdhsa_user_sgpr_private_segment_size 0
		.amdhsa_uses_dynamic_stack 0
		.amdhsa_system_sgpr_private_segment_wavefront_offset 0
		.amdhsa_system_sgpr_workgroup_id_x 1
		.amdhsa_system_sgpr_workgroup_id_y 0
		.amdhsa_system_sgpr_workgroup_id_z 0
		.amdhsa_system_sgpr_workgroup_info 0
		.amdhsa_system_vgpr_workitem_id 0
		.amdhsa_next_free_vgpr 3
		.amdhsa_next_free_sgpr 7
		.amdhsa_accum_offset 4
		.amdhsa_reserve_vcc 0
		.amdhsa_reserve_flat_scratch 0
		.amdhsa_float_round_mode_32 0
		.amdhsa_float_round_mode_16_64 0
		.amdhsa_float_denorm_mode_32 3
		.amdhsa_float_denorm_mode_16_64 3
		.amdhsa_dx10_clamp 1
		.amdhsa_ieee_mode 1
		.amdhsa_fp16_overflow 0
		.amdhsa_tg_split 0
		.amdhsa_exception_fp_ieee_invalid_op 0
		.amdhsa_exception_fp_denorm_src 0
		.amdhsa_exception_fp_ieee_div_zero 0
		.amdhsa_exception_fp_ieee_overflow 0
		.amdhsa_exception_fp_ieee_underflow 0
		.amdhsa_exception_fp_ieee_inexact 0
		.amdhsa_exception_int_div_zero 0
	.end_amdhsa_kernel
	.section	.text._Z25striped_to_blocked_kernelIyyLj128ELj1EEvPT_PT0_,"axG",@progbits,_Z25striped_to_blocked_kernelIyyLj128ELj1EEvPT_PT0_,comdat
.Lfunc_end32:
	.size	_Z25striped_to_blocked_kernelIyyLj128ELj1EEvPT_PT0_, .Lfunc_end32-_Z25striped_to_blocked_kernelIyyLj128ELj1EEvPT_PT0_
                                        ; -- End function
	.section	.AMDGPU.csdata,"",@progbits
; Kernel info:
; codeLenInByte = 96
; NumSgprs: 11
; NumVgprs: 3
; NumAgprs: 0
; TotalNumVgprs: 3
; ScratchSize: 0
; MemoryBound: 0
; FloatMode: 240
; IeeeMode: 1
; LDSByteSize: 1024 bytes/workgroup (compile time only)
; SGPRBlocks: 1
; VGPRBlocks: 0
; NumSGPRsForWavesPerEU: 11
; NumVGPRsForWavesPerEU: 3
; AccumOffset: 4
; Occupancy: 8
; WaveLimiterHint : 0
; COMPUTE_PGM_RSRC2:SCRATCH_EN: 0
; COMPUTE_PGM_RSRC2:USER_SGPR: 6
; COMPUTE_PGM_RSRC2:TRAP_HANDLER: 0
; COMPUTE_PGM_RSRC2:TGID_X_EN: 1
; COMPUTE_PGM_RSRC2:TGID_Y_EN: 0
; COMPUTE_PGM_RSRC2:TGID_Z_EN: 0
; COMPUTE_PGM_RSRC2:TIDIG_COMP_CNT: 0
; COMPUTE_PGM_RSRC3_GFX90A:ACCUM_OFFSET: 0
; COMPUTE_PGM_RSRC3_GFX90A:TG_SPLIT: 0
	.section	.text._Z25striped_to_blocked_kernelIixLj64ELj1EEvPT_PT0_,"axG",@progbits,_Z25striped_to_blocked_kernelIixLj64ELj1EEvPT_PT0_,comdat
	.protected	_Z25striped_to_blocked_kernelIixLj64ELj1EEvPT_PT0_ ; -- Begin function _Z25striped_to_blocked_kernelIixLj64ELj1EEvPT_PT0_
	.globl	_Z25striped_to_blocked_kernelIixLj64ELj1EEvPT_PT0_
	.p2align	8
	.type	_Z25striped_to_blocked_kernelIixLj64ELj1EEvPT_PT0_,@function
_Z25striped_to_blocked_kernelIixLj64ELj1EEvPT_PT0_: ; @_Z25striped_to_blocked_kernelIixLj64ELj1EEvPT_PT0_
; %bb.0:
	s_load_dwordx4 s[0:3], s[4:5], 0x0
	s_lshl_b32 s4, s6, 6
	s_mov_b32 s5, 0
	s_lshl_b64 s[6:7], s[4:5], 2
	v_lshlrev_b32_e32 v1, 2, v0
	s_waitcnt lgkmcnt(0)
	s_add_u32 s0, s0, s6
	s_addc_u32 s1, s1, s7
	global_load_dword v2, v1, s[0:1]
	s_lshl_b64 s[0:1], s[4:5], 3
	s_add_u32 s0, s2, s0
	s_addc_u32 s1, s3, s1
	v_lshlrev_b32_e32 v0, 3, v0
	s_waitcnt vmcnt(0)
	ds_write_b32 v1, v2
	s_waitcnt lgkmcnt(0)
	s_barrier
	ds_read_b32 v2, v1
	s_waitcnt lgkmcnt(0)
	v_ashrrev_i32_e32 v3, 31, v2
	global_store_dwordx2 v0, v[2:3], s[0:1]
	s_endpgm
	.section	.rodata,"a",@progbits
	.p2align	6, 0x0
	.amdhsa_kernel _Z25striped_to_blocked_kernelIixLj64ELj1EEvPT_PT0_
		.amdhsa_group_segment_fixed_size 256
		.amdhsa_private_segment_fixed_size 0
		.amdhsa_kernarg_size 16
		.amdhsa_user_sgpr_count 6
		.amdhsa_user_sgpr_private_segment_buffer 1
		.amdhsa_user_sgpr_dispatch_ptr 0
		.amdhsa_user_sgpr_queue_ptr 0
		.amdhsa_user_sgpr_kernarg_segment_ptr 1
		.amdhsa_user_sgpr_dispatch_id 0
		.amdhsa_user_sgpr_flat_scratch_init 0
		.amdhsa_user_sgpr_kernarg_preload_length 0
		.amdhsa_user_sgpr_kernarg_preload_offset 0
		.amdhsa_user_sgpr_private_segment_size 0
		.amdhsa_uses_dynamic_stack 0
		.amdhsa_system_sgpr_private_segment_wavefront_offset 0
		.amdhsa_system_sgpr_workgroup_id_x 1
		.amdhsa_system_sgpr_workgroup_id_y 0
		.amdhsa_system_sgpr_workgroup_id_z 0
		.amdhsa_system_sgpr_workgroup_info 0
		.amdhsa_system_vgpr_workitem_id 0
		.amdhsa_next_free_vgpr 4
		.amdhsa_next_free_sgpr 8
		.amdhsa_accum_offset 4
		.amdhsa_reserve_vcc 0
		.amdhsa_reserve_flat_scratch 0
		.amdhsa_float_round_mode_32 0
		.amdhsa_float_round_mode_16_64 0
		.amdhsa_float_denorm_mode_32 3
		.amdhsa_float_denorm_mode_16_64 3
		.amdhsa_dx10_clamp 1
		.amdhsa_ieee_mode 1
		.amdhsa_fp16_overflow 0
		.amdhsa_tg_split 0
		.amdhsa_exception_fp_ieee_invalid_op 0
		.amdhsa_exception_fp_denorm_src 0
		.amdhsa_exception_fp_ieee_div_zero 0
		.amdhsa_exception_fp_ieee_overflow 0
		.amdhsa_exception_fp_ieee_underflow 0
		.amdhsa_exception_fp_ieee_inexact 0
		.amdhsa_exception_int_div_zero 0
	.end_amdhsa_kernel
	.section	.text._Z25striped_to_blocked_kernelIixLj64ELj1EEvPT_PT0_,"axG",@progbits,_Z25striped_to_blocked_kernelIixLj64ELj1EEvPT_PT0_,comdat
.Lfunc_end33:
	.size	_Z25striped_to_blocked_kernelIixLj64ELj1EEvPT_PT0_, .Lfunc_end33-_Z25striped_to_blocked_kernelIixLj64ELj1EEvPT_PT0_
                                        ; -- End function
	.section	.AMDGPU.csdata,"",@progbits
; Kernel info:
; codeLenInByte = 108
; NumSgprs: 12
; NumVgprs: 4
; NumAgprs: 0
; TotalNumVgprs: 4
; ScratchSize: 0
; MemoryBound: 0
; FloatMode: 240
; IeeeMode: 1
; LDSByteSize: 256 bytes/workgroup (compile time only)
; SGPRBlocks: 1
; VGPRBlocks: 0
; NumSGPRsForWavesPerEU: 12
; NumVGPRsForWavesPerEU: 4
; AccumOffset: 4
; Occupancy: 8
; WaveLimiterHint : 0
; COMPUTE_PGM_RSRC2:SCRATCH_EN: 0
; COMPUTE_PGM_RSRC2:USER_SGPR: 6
; COMPUTE_PGM_RSRC2:TRAP_HANDLER: 0
; COMPUTE_PGM_RSRC2:TGID_X_EN: 1
; COMPUTE_PGM_RSRC2:TGID_Y_EN: 0
; COMPUTE_PGM_RSRC2:TGID_Z_EN: 0
; COMPUTE_PGM_RSRC2:TIDIG_COMP_CNT: 0
; COMPUTE_PGM_RSRC3_GFX90A:ACCUM_OFFSET: 0
; COMPUTE_PGM_RSRC3_GFX90A:TG_SPLIT: 0
	.section	.text._Z25striped_to_blocked_kernelI6__halfS0_Lj512ELj4EEvPT_PT0_,"axG",@progbits,_Z25striped_to_blocked_kernelI6__halfS0_Lj512ELj4EEvPT_PT0_,comdat
	.protected	_Z25striped_to_blocked_kernelI6__halfS0_Lj512ELj4EEvPT_PT0_ ; -- Begin function _Z25striped_to_blocked_kernelI6__halfS0_Lj512ELj4EEvPT_PT0_
	.globl	_Z25striped_to_blocked_kernelI6__halfS0_Lj512ELj4EEvPT_PT0_
	.p2align	8
	.type	_Z25striped_to_blocked_kernelI6__halfS0_Lj512ELj4EEvPT_PT0_,@function
_Z25striped_to_blocked_kernelI6__halfS0_Lj512ELj4EEvPT_PT0_: ; @_Z25striped_to_blocked_kernelI6__halfS0_Lj512ELj4EEvPT_PT0_
; %bb.0:
	s_load_dwordx4 s[0:3], s[4:5], 0x0
	s_lshl_b32 s4, s6, 9
	s_mov_b32 s5, 0
	s_lshl_b64 s[4:5], s[4:5], 1
	v_lshlrev_b32_e32 v4, 3, v0
	s_waitcnt lgkmcnt(0)
	s_add_u32 s0, s0, s4
	s_addc_u32 s1, s1, s5
	global_load_dwordx2 v[2:3], v4, s[0:1]
	v_add_u32_e32 v6, 0x80, v0
	v_add_u32_e32 v7, 0x100, v0
	;; [unrolled: 1-line block ×3, first 2 shown]
	v_lshrrev_b32_e32 v5, 5, v0
	v_lshrrev_b32_e32 v9, 3, v0
	;; [unrolled: 1-line block ×5, first 2 shown]
	v_lshlrev_b32_e32 v1, 2, v0
	v_and_b32_e32 v5, 14, v5
	v_and_b32_e32 v9, 62, v9
	;; [unrolled: 1-line block ×5, first 2 shown]
	v_add_lshl_u32 v5, v5, v0, 1
	v_add_lshl_u32 v1, v9, v1, 1
	;; [unrolled: 1-line block ×5, first 2 shown]
	s_add_u32 s0, s2, s4
	s_addc_u32 s1, s3, s5
	s_waitcnt vmcnt(0)
	ds_write_b16 v5, v2
	ds_write_b16_d16_hi v6, v2 offset:256
	ds_write_b16 v7, v3 offset:512
	ds_write_b16_d16_hi v0, v3 offset:768
	s_waitcnt lgkmcnt(0)
	s_barrier
	ds_read_b64 v[0:1], v1
	s_waitcnt lgkmcnt(0)
	global_store_dwordx2 v4, v[0:1], s[0:1]
	s_endpgm
	.section	.rodata,"a",@progbits
	.p2align	6, 0x0
	.amdhsa_kernel _Z25striped_to_blocked_kernelI6__halfS0_Lj512ELj4EEvPT_PT0_
		.amdhsa_group_segment_fixed_size 1056
		.amdhsa_private_segment_fixed_size 0
		.amdhsa_kernarg_size 16
		.amdhsa_user_sgpr_count 6
		.amdhsa_user_sgpr_private_segment_buffer 1
		.amdhsa_user_sgpr_dispatch_ptr 0
		.amdhsa_user_sgpr_queue_ptr 0
		.amdhsa_user_sgpr_kernarg_segment_ptr 1
		.amdhsa_user_sgpr_dispatch_id 0
		.amdhsa_user_sgpr_flat_scratch_init 0
		.amdhsa_user_sgpr_kernarg_preload_length 0
		.amdhsa_user_sgpr_kernarg_preload_offset 0
		.amdhsa_user_sgpr_private_segment_size 0
		.amdhsa_uses_dynamic_stack 0
		.amdhsa_system_sgpr_private_segment_wavefront_offset 0
		.amdhsa_system_sgpr_workgroup_id_x 1
		.amdhsa_system_sgpr_workgroup_id_y 0
		.amdhsa_system_sgpr_workgroup_id_z 0
		.amdhsa_system_sgpr_workgroup_info 0
		.amdhsa_system_vgpr_workitem_id 0
		.amdhsa_next_free_vgpr 10
		.amdhsa_next_free_sgpr 7
		.amdhsa_accum_offset 12
		.amdhsa_reserve_vcc 0
		.amdhsa_reserve_flat_scratch 0
		.amdhsa_float_round_mode_32 0
		.amdhsa_float_round_mode_16_64 0
		.amdhsa_float_denorm_mode_32 3
		.amdhsa_float_denorm_mode_16_64 3
		.amdhsa_dx10_clamp 1
		.amdhsa_ieee_mode 1
		.amdhsa_fp16_overflow 0
		.amdhsa_tg_split 0
		.amdhsa_exception_fp_ieee_invalid_op 0
		.amdhsa_exception_fp_denorm_src 0
		.amdhsa_exception_fp_ieee_div_zero 0
		.amdhsa_exception_fp_ieee_overflow 0
		.amdhsa_exception_fp_ieee_underflow 0
		.amdhsa_exception_fp_ieee_inexact 0
		.amdhsa_exception_int_div_zero 0
	.end_amdhsa_kernel
	.section	.text._Z25striped_to_blocked_kernelI6__halfS0_Lj512ELj4EEvPT_PT0_,"axG",@progbits,_Z25striped_to_blocked_kernelI6__halfS0_Lj512ELj4EEvPT_PT0_,comdat
.Lfunc_end34:
	.size	_Z25striped_to_blocked_kernelI6__halfS0_Lj512ELj4EEvPT_PT0_, .Lfunc_end34-_Z25striped_to_blocked_kernelI6__halfS0_Lj512ELj4EEvPT_PT0_
                                        ; -- End function
	.section	.AMDGPU.csdata,"",@progbits
; Kernel info:
; codeLenInByte = 228
; NumSgprs: 11
; NumVgprs: 10
; NumAgprs: 0
; TotalNumVgprs: 10
; ScratchSize: 0
; MemoryBound: 0
; FloatMode: 240
; IeeeMode: 1
; LDSByteSize: 1056 bytes/workgroup (compile time only)
; SGPRBlocks: 1
; VGPRBlocks: 1
; NumSGPRsForWavesPerEU: 11
; NumVGPRsForWavesPerEU: 10
; AccumOffset: 12
; Occupancy: 8
; WaveLimiterHint : 0
; COMPUTE_PGM_RSRC2:SCRATCH_EN: 0
; COMPUTE_PGM_RSRC2:USER_SGPR: 6
; COMPUTE_PGM_RSRC2:TRAP_HANDLER: 0
; COMPUTE_PGM_RSRC2:TGID_X_EN: 1
; COMPUTE_PGM_RSRC2:TGID_Y_EN: 0
; COMPUTE_PGM_RSRC2:TGID_Z_EN: 0
; COMPUTE_PGM_RSRC2:TIDIG_COMP_CNT: 0
; COMPUTE_PGM_RSRC3_GFX90A:ACCUM_OFFSET: 2
; COMPUTE_PGM_RSRC3_GFX90A:TG_SPLIT: 0
	.section	.text._Z25striped_to_blocked_kernelI12hip_bfloat16S0_Lj512ELj4EEvPT_PT0_,"axG",@progbits,_Z25striped_to_blocked_kernelI12hip_bfloat16S0_Lj512ELj4EEvPT_PT0_,comdat
	.protected	_Z25striped_to_blocked_kernelI12hip_bfloat16S0_Lj512ELj4EEvPT_PT0_ ; -- Begin function _Z25striped_to_blocked_kernelI12hip_bfloat16S0_Lj512ELj4EEvPT_PT0_
	.globl	_Z25striped_to_blocked_kernelI12hip_bfloat16S0_Lj512ELj4EEvPT_PT0_
	.p2align	8
	.type	_Z25striped_to_blocked_kernelI12hip_bfloat16S0_Lj512ELj4EEvPT_PT0_,@function
_Z25striped_to_blocked_kernelI12hip_bfloat16S0_Lj512ELj4EEvPT_PT0_: ; @_Z25striped_to_blocked_kernelI12hip_bfloat16S0_Lj512ELj4EEvPT_PT0_
; %bb.0:
	s_load_dwordx4 s[0:3], s[4:5], 0x0
	s_lshl_b32 s4, s6, 9
	s_mov_b32 s5, 0
	s_lshl_b64 s[4:5], s[4:5], 1
	v_lshlrev_b32_e32 v4, 3, v0
	s_waitcnt lgkmcnt(0)
	s_add_u32 s0, s0, s4
	s_addc_u32 s1, s1, s5
	global_load_dwordx2 v[2:3], v4, s[0:1]
	v_add_u32_e32 v6, 0x80, v0
	v_add_u32_e32 v7, 0x100, v0
	;; [unrolled: 1-line block ×3, first 2 shown]
	v_lshrrev_b32_e32 v5, 5, v0
	v_lshrrev_b32_e32 v9, 3, v0
	;; [unrolled: 1-line block ×5, first 2 shown]
	v_lshlrev_b32_e32 v1, 2, v0
	v_and_b32_e32 v5, 14, v5
	v_and_b32_e32 v9, 62, v9
	;; [unrolled: 1-line block ×5, first 2 shown]
	v_add_lshl_u32 v5, v5, v0, 1
	v_add_lshl_u32 v1, v9, v1, 1
	v_add_lshl_u32 v6, v6, v0, 1
	v_add_lshl_u32 v7, v7, v0, 1
	v_add_lshl_u32 v0, v8, v0, 1
	s_add_u32 s0, s2, s4
	s_addc_u32 s1, s3, s5
	s_waitcnt vmcnt(0)
	ds_write_b16 v5, v2
	ds_write_b16_d16_hi v6, v2 offset:256
	ds_write_b16 v7, v3 offset:512
	ds_write_b16_d16_hi v0, v3 offset:768
	s_waitcnt lgkmcnt(0)
	s_barrier
	ds_read_b64 v[0:1], v1
	s_waitcnt lgkmcnt(0)
	global_store_dwordx2 v4, v[0:1], s[0:1]
	s_endpgm
	.section	.rodata,"a",@progbits
	.p2align	6, 0x0
	.amdhsa_kernel _Z25striped_to_blocked_kernelI12hip_bfloat16S0_Lj512ELj4EEvPT_PT0_
		.amdhsa_group_segment_fixed_size 1056
		.amdhsa_private_segment_fixed_size 0
		.amdhsa_kernarg_size 16
		.amdhsa_user_sgpr_count 6
		.amdhsa_user_sgpr_private_segment_buffer 1
		.amdhsa_user_sgpr_dispatch_ptr 0
		.amdhsa_user_sgpr_queue_ptr 0
		.amdhsa_user_sgpr_kernarg_segment_ptr 1
		.amdhsa_user_sgpr_dispatch_id 0
		.amdhsa_user_sgpr_flat_scratch_init 0
		.amdhsa_user_sgpr_kernarg_preload_length 0
		.amdhsa_user_sgpr_kernarg_preload_offset 0
		.amdhsa_user_sgpr_private_segment_size 0
		.amdhsa_uses_dynamic_stack 0
		.amdhsa_system_sgpr_private_segment_wavefront_offset 0
		.amdhsa_system_sgpr_workgroup_id_x 1
		.amdhsa_system_sgpr_workgroup_id_y 0
		.amdhsa_system_sgpr_workgroup_id_z 0
		.amdhsa_system_sgpr_workgroup_info 0
		.amdhsa_system_vgpr_workitem_id 0
		.amdhsa_next_free_vgpr 10
		.amdhsa_next_free_sgpr 7
		.amdhsa_accum_offset 12
		.amdhsa_reserve_vcc 0
		.amdhsa_reserve_flat_scratch 0
		.amdhsa_float_round_mode_32 0
		.amdhsa_float_round_mode_16_64 0
		.amdhsa_float_denorm_mode_32 3
		.amdhsa_float_denorm_mode_16_64 3
		.amdhsa_dx10_clamp 1
		.amdhsa_ieee_mode 1
		.amdhsa_fp16_overflow 0
		.amdhsa_tg_split 0
		.amdhsa_exception_fp_ieee_invalid_op 0
		.amdhsa_exception_fp_denorm_src 0
		.amdhsa_exception_fp_ieee_div_zero 0
		.amdhsa_exception_fp_ieee_overflow 0
		.amdhsa_exception_fp_ieee_underflow 0
		.amdhsa_exception_fp_ieee_inexact 0
		.amdhsa_exception_int_div_zero 0
	.end_amdhsa_kernel
	.section	.text._Z25striped_to_blocked_kernelI12hip_bfloat16S0_Lj512ELj4EEvPT_PT0_,"axG",@progbits,_Z25striped_to_blocked_kernelI12hip_bfloat16S0_Lj512ELj4EEvPT_PT0_,comdat
.Lfunc_end35:
	.size	_Z25striped_to_blocked_kernelI12hip_bfloat16S0_Lj512ELj4EEvPT_PT0_, .Lfunc_end35-_Z25striped_to_blocked_kernelI12hip_bfloat16S0_Lj512ELj4EEvPT_PT0_
                                        ; -- End function
	.section	.AMDGPU.csdata,"",@progbits
; Kernel info:
; codeLenInByte = 228
; NumSgprs: 11
; NumVgprs: 10
; NumAgprs: 0
; TotalNumVgprs: 10
; ScratchSize: 0
; MemoryBound: 0
; FloatMode: 240
; IeeeMode: 1
; LDSByteSize: 1056 bytes/workgroup (compile time only)
; SGPRBlocks: 1
; VGPRBlocks: 1
; NumSGPRsForWavesPerEU: 11
; NumVGPRsForWavesPerEU: 10
; AccumOffset: 12
; Occupancy: 8
; WaveLimiterHint : 0
; COMPUTE_PGM_RSRC2:SCRATCH_EN: 0
; COMPUTE_PGM_RSRC2:USER_SGPR: 6
; COMPUTE_PGM_RSRC2:TRAP_HANDLER: 0
; COMPUTE_PGM_RSRC2:TGID_X_EN: 1
; COMPUTE_PGM_RSRC2:TGID_Y_EN: 0
; COMPUTE_PGM_RSRC2:TGID_Z_EN: 0
; COMPUTE_PGM_RSRC2:TIDIG_COMP_CNT: 0
; COMPUTE_PGM_RSRC3_GFX90A:ACCUM_OFFSET: 2
; COMPUTE_PGM_RSRC3_GFX90A:TG_SPLIT: 0
	.section	.text._Z25striped_to_blocked_kernelIfdLj512ELj4EEvPT_PT0_,"axG",@progbits,_Z25striped_to_blocked_kernelIfdLj512ELj4EEvPT_PT0_,comdat
	.protected	_Z25striped_to_blocked_kernelIfdLj512ELj4EEvPT_PT0_ ; -- Begin function _Z25striped_to_blocked_kernelIfdLj512ELj4EEvPT_PT0_
	.globl	_Z25striped_to_blocked_kernelIfdLj512ELj4EEvPT_PT0_
	.p2align	8
	.type	_Z25striped_to_blocked_kernelIfdLj512ELj4EEvPT_PT0_,@function
_Z25striped_to_blocked_kernelIfdLj512ELj4EEvPT_PT0_: ; @_Z25striped_to_blocked_kernelIfdLj512ELj4EEvPT_PT0_
; %bb.0:
	s_load_dwordx4 s[0:3], s[4:5], 0x0
	s_lshl_b32 s4, s6, 9
	s_mov_b32 s5, 0
	s_lshl_b64 s[6:7], s[4:5], 2
	v_lshlrev_b32_e32 v1, 4, v0
	s_waitcnt lgkmcnt(0)
	s_add_u32 s0, s0, s6
	s_addc_u32 s1, s1, s7
	global_load_dwordx4 v[2:5], v1, s[0:1]
	v_lshlrev_b32_e32 v1, 2, v0
	v_lshrrev_b32_e32 v6, 5, v0
	v_add_u32_e32 v7, 0x80, v0
	v_add_u32_e32 v8, 0x100, v0
	;; [unrolled: 1-line block ×3, first 2 shown]
	v_lshrrev_b32_e32 v10, 3, v0
	v_add_lshl_u32 v6, v6, v0, 2
	v_lshrrev_b32_e32 v7, 5, v7
	v_lshrrev_b32_e32 v8, 5, v8
	;; [unrolled: 1-line block ×3, first 2 shown]
	v_add_lshl_u32 v1, v10, v1, 2
	v_lshlrev_b32_e32 v11, 5, v0
	v_add_lshl_u32 v7, v7, v0, 2
	v_add_lshl_u32 v8, v8, v0, 2
	;; [unrolled: 1-line block ×3, first 2 shown]
	s_lshl_b64 s[0:1], s[4:5], 3
	s_add_u32 s0, s2, s0
	s_addc_u32 s1, s3, s1
	s_waitcnt vmcnt(0)
	ds_write_b32 v6, v2
	ds_write_b32 v7, v3 offset:512
	ds_write_b32 v8, v4 offset:1024
	;; [unrolled: 1-line block ×3, first 2 shown]
	s_waitcnt lgkmcnt(0)
	s_barrier
	ds_read2_b32 v[2:3], v1 offset1:1
	ds_read2_b32 v[6:7], v1 offset0:2 offset1:3
	s_waitcnt lgkmcnt(1)
	v_cvt_f64_f32_e32 v[0:1], v2
	v_cvt_f64_f32_e32 v[2:3], v3
	s_waitcnt lgkmcnt(0)
	v_cvt_f64_f32_e32 v[4:5], v6
	v_cvt_f64_f32_e32 v[6:7], v7
	global_store_dwordx4 v11, v[0:3], s[0:1]
	global_store_dwordx4 v11, v[4:7], s[0:1] offset:16
	s_endpgm
	.section	.rodata,"a",@progbits
	.p2align	6, 0x0
	.amdhsa_kernel _Z25striped_to_blocked_kernelIfdLj512ELj4EEvPT_PT0_
		.amdhsa_group_segment_fixed_size 2112
		.amdhsa_private_segment_fixed_size 0
		.amdhsa_kernarg_size 16
		.amdhsa_user_sgpr_count 6
		.amdhsa_user_sgpr_private_segment_buffer 1
		.amdhsa_user_sgpr_dispatch_ptr 0
		.amdhsa_user_sgpr_queue_ptr 0
		.amdhsa_user_sgpr_kernarg_segment_ptr 1
		.amdhsa_user_sgpr_dispatch_id 0
		.amdhsa_user_sgpr_flat_scratch_init 0
		.amdhsa_user_sgpr_kernarg_preload_length 0
		.amdhsa_user_sgpr_kernarg_preload_offset 0
		.amdhsa_user_sgpr_private_segment_size 0
		.amdhsa_uses_dynamic_stack 0
		.amdhsa_system_sgpr_private_segment_wavefront_offset 0
		.amdhsa_system_sgpr_workgroup_id_x 1
		.amdhsa_system_sgpr_workgroup_id_y 0
		.amdhsa_system_sgpr_workgroup_id_z 0
		.amdhsa_system_sgpr_workgroup_info 0
		.amdhsa_system_vgpr_workitem_id 0
		.amdhsa_next_free_vgpr 12
		.amdhsa_next_free_sgpr 8
		.amdhsa_accum_offset 12
		.amdhsa_reserve_vcc 0
		.amdhsa_reserve_flat_scratch 0
		.amdhsa_float_round_mode_32 0
		.amdhsa_float_round_mode_16_64 0
		.amdhsa_float_denorm_mode_32 3
		.amdhsa_float_denorm_mode_16_64 3
		.amdhsa_dx10_clamp 1
		.amdhsa_ieee_mode 1
		.amdhsa_fp16_overflow 0
		.amdhsa_tg_split 0
		.amdhsa_exception_fp_ieee_invalid_op 0
		.amdhsa_exception_fp_denorm_src 0
		.amdhsa_exception_fp_ieee_div_zero 0
		.amdhsa_exception_fp_ieee_overflow 0
		.amdhsa_exception_fp_ieee_underflow 0
		.amdhsa_exception_fp_ieee_inexact 0
		.amdhsa_exception_int_div_zero 0
	.end_amdhsa_kernel
	.section	.text._Z25striped_to_blocked_kernelIfdLj512ELj4EEvPT_PT0_,"axG",@progbits,_Z25striped_to_blocked_kernelIfdLj512ELj4EEvPT_PT0_,comdat
.Lfunc_end36:
	.size	_Z25striped_to_blocked_kernelIfdLj512ELj4EEvPT_PT0_, .Lfunc_end36-_Z25striped_to_blocked_kernelIfdLj512ELj4EEvPT_PT0_
                                        ; -- End function
	.section	.AMDGPU.csdata,"",@progbits
; Kernel info:
; codeLenInByte = 252
; NumSgprs: 12
; NumVgprs: 12
; NumAgprs: 0
; TotalNumVgprs: 12
; ScratchSize: 0
; MemoryBound: 0
; FloatMode: 240
; IeeeMode: 1
; LDSByteSize: 2112 bytes/workgroup (compile time only)
; SGPRBlocks: 1
; VGPRBlocks: 1
; NumSGPRsForWavesPerEU: 12
; NumVGPRsForWavesPerEU: 12
; AccumOffset: 12
; Occupancy: 8
; WaveLimiterHint : 0
; COMPUTE_PGM_RSRC2:SCRATCH_EN: 0
; COMPUTE_PGM_RSRC2:USER_SGPR: 6
; COMPUTE_PGM_RSRC2:TRAP_HANDLER: 0
; COMPUTE_PGM_RSRC2:TGID_X_EN: 1
; COMPUTE_PGM_RSRC2:TGID_Y_EN: 0
; COMPUTE_PGM_RSRC2:TGID_Z_EN: 0
; COMPUTE_PGM_RSRC2:TIDIG_COMP_CNT: 0
; COMPUTE_PGM_RSRC3_GFX90A:ACCUM_OFFSET: 2
; COMPUTE_PGM_RSRC3_GFX90A:TG_SPLIT: 0
	.section	.text._Z25striped_to_blocked_kernelIiiLj512ELj4EEvPT_PT0_,"axG",@progbits,_Z25striped_to_blocked_kernelIiiLj512ELj4EEvPT_PT0_,comdat
	.protected	_Z25striped_to_blocked_kernelIiiLj512ELj4EEvPT_PT0_ ; -- Begin function _Z25striped_to_blocked_kernelIiiLj512ELj4EEvPT_PT0_
	.globl	_Z25striped_to_blocked_kernelIiiLj512ELj4EEvPT_PT0_
	.p2align	8
	.type	_Z25striped_to_blocked_kernelIiiLj512ELj4EEvPT_PT0_,@function
_Z25striped_to_blocked_kernelIiiLj512ELj4EEvPT_PT0_: ; @_Z25striped_to_blocked_kernelIiiLj512ELj4EEvPT_PT0_
; %bb.0:
	s_load_dwordx4 s[0:3], s[4:5], 0x0
	s_lshl_b32 s4, s6, 9
	s_mov_b32 s5, 0
	s_lshl_b64 s[4:5], s[4:5], 2
	v_lshlrev_b32_e32 v6, 4, v0
	s_waitcnt lgkmcnt(0)
	s_add_u32 s0, s0, s4
	s_addc_u32 s1, s1, s5
	global_load_dwordx4 v[2:5], v6, s[0:1]
	v_add_u32_e32 v8, 0x80, v0
	v_add_u32_e32 v9, 0x100, v0
	;; [unrolled: 1-line block ×3, first 2 shown]
	v_lshlrev_b32_e32 v1, 2, v0
	v_lshrrev_b32_e32 v7, 5, v0
	v_lshrrev_b32_e32 v11, 3, v0
	;; [unrolled: 1-line block ×5, first 2 shown]
	v_add_lshl_u32 v7, v7, v0, 2
	v_add_lshl_u32 v11, v11, v1, 2
	v_add_lshl_u32 v1, v8, v0, 2
	v_add_lshl_u32 v8, v9, v0, 2
	v_add_lshl_u32 v0, v10, v0, 2
	s_add_u32 s0, s2, s4
	s_addc_u32 s1, s3, s5
	s_waitcnt vmcnt(0)
	ds_write_b32 v7, v2
	ds_write_b32 v1, v3 offset:512
	ds_write_b32 v8, v4 offset:1024
	;; [unrolled: 1-line block ×3, first 2 shown]
	s_waitcnt lgkmcnt(0)
	s_barrier
	ds_read2_b32 v[0:1], v11 offset1:1
	ds_read2_b32 v[2:3], v11 offset0:2 offset1:3
	s_waitcnt lgkmcnt(0)
	global_store_dwordx4 v6, v[0:3], s[0:1]
	s_endpgm
	.section	.rodata,"a",@progbits
	.p2align	6, 0x0
	.amdhsa_kernel _Z25striped_to_blocked_kernelIiiLj512ELj4EEvPT_PT0_
		.amdhsa_group_segment_fixed_size 2112
		.amdhsa_private_segment_fixed_size 0
		.amdhsa_kernarg_size 16
		.amdhsa_user_sgpr_count 6
		.amdhsa_user_sgpr_private_segment_buffer 1
		.amdhsa_user_sgpr_dispatch_ptr 0
		.amdhsa_user_sgpr_queue_ptr 0
		.amdhsa_user_sgpr_kernarg_segment_ptr 1
		.amdhsa_user_sgpr_dispatch_id 0
		.amdhsa_user_sgpr_flat_scratch_init 0
		.amdhsa_user_sgpr_kernarg_preload_length 0
		.amdhsa_user_sgpr_kernarg_preload_offset 0
		.amdhsa_user_sgpr_private_segment_size 0
		.amdhsa_uses_dynamic_stack 0
		.amdhsa_system_sgpr_private_segment_wavefront_offset 0
		.amdhsa_system_sgpr_workgroup_id_x 1
		.amdhsa_system_sgpr_workgroup_id_y 0
		.amdhsa_system_sgpr_workgroup_id_z 0
		.amdhsa_system_sgpr_workgroup_info 0
		.amdhsa_system_vgpr_workitem_id 0
		.amdhsa_next_free_vgpr 12
		.amdhsa_next_free_sgpr 7
		.amdhsa_accum_offset 12
		.amdhsa_reserve_vcc 0
		.amdhsa_reserve_flat_scratch 0
		.amdhsa_float_round_mode_32 0
		.amdhsa_float_round_mode_16_64 0
		.amdhsa_float_denorm_mode_32 3
		.amdhsa_float_denorm_mode_16_64 3
		.amdhsa_dx10_clamp 1
		.amdhsa_ieee_mode 1
		.amdhsa_fp16_overflow 0
		.amdhsa_tg_split 0
		.amdhsa_exception_fp_ieee_invalid_op 0
		.amdhsa_exception_fp_denorm_src 0
		.amdhsa_exception_fp_ieee_div_zero 0
		.amdhsa_exception_fp_ieee_overflow 0
		.amdhsa_exception_fp_ieee_underflow 0
		.amdhsa_exception_fp_ieee_inexact 0
		.amdhsa_exception_int_div_zero 0
	.end_amdhsa_kernel
	.section	.text._Z25striped_to_blocked_kernelIiiLj512ELj4EEvPT_PT0_,"axG",@progbits,_Z25striped_to_blocked_kernelIiiLj512ELj4EEvPT_PT0_,comdat
.Lfunc_end37:
	.size	_Z25striped_to_blocked_kernelIiiLj512ELj4EEvPT_PT0_, .Lfunc_end37-_Z25striped_to_blocked_kernelIiiLj512ELj4EEvPT_PT0_
                                        ; -- End function
	.section	.AMDGPU.csdata,"",@progbits
; Kernel info:
; codeLenInByte = 216
; NumSgprs: 11
; NumVgprs: 12
; NumAgprs: 0
; TotalNumVgprs: 12
; ScratchSize: 0
; MemoryBound: 0
; FloatMode: 240
; IeeeMode: 1
; LDSByteSize: 2112 bytes/workgroup (compile time only)
; SGPRBlocks: 1
; VGPRBlocks: 1
; NumSGPRsForWavesPerEU: 11
; NumVGPRsForWavesPerEU: 12
; AccumOffset: 12
; Occupancy: 8
; WaveLimiterHint : 0
; COMPUTE_PGM_RSRC2:SCRATCH_EN: 0
; COMPUTE_PGM_RSRC2:USER_SGPR: 6
; COMPUTE_PGM_RSRC2:TRAP_HANDLER: 0
; COMPUTE_PGM_RSRC2:TGID_X_EN: 1
; COMPUTE_PGM_RSRC2:TGID_Y_EN: 0
; COMPUTE_PGM_RSRC2:TGID_Z_EN: 0
; COMPUTE_PGM_RSRC2:TIDIG_COMP_CNT: 0
; COMPUTE_PGM_RSRC3_GFX90A:ACCUM_OFFSET: 2
; COMPUTE_PGM_RSRC3_GFX90A:TG_SPLIT: 0
	.section	.text._Z30blocked_to_warp_striped_kernelIsiLj2106ELj9EEvPT_PT0_,"axG",@progbits,_Z30blocked_to_warp_striped_kernelIsiLj2106ELj9EEvPT_PT0_,comdat
	.protected	_Z30blocked_to_warp_striped_kernelIsiLj2106ELj9EEvPT_PT0_ ; -- Begin function _Z30blocked_to_warp_striped_kernelIsiLj2106ELj9EEvPT_PT0_
	.globl	_Z30blocked_to_warp_striped_kernelIsiLj2106ELj9EEvPT_PT0_
	.p2align	8
	.type	_Z30blocked_to_warp_striped_kernelIsiLj2106ELj9EEvPT_PT0_,@function
_Z30blocked_to_warp_striped_kernelIsiLj2106ELj9EEvPT_PT0_: ; @_Z30blocked_to_warp_striped_kernelIsiLj2106ELj9EEvPT_PT0_
; %bb.0:
	s_load_dwordx4 s[0:3], s[4:5], 0x0
	s_mul_i32 s4, s6, 0x83a
	s_mov_b32 s5, 0
	s_lshl_b64 s[6:7], s[4:5], 1
	v_mul_u32_u24_e32 v1, 9, v0
	s_waitcnt lgkmcnt(0)
	s_add_u32 s0, s0, s6
	s_addc_u32 s1, s1, s7
	v_lshlrev_b32_e32 v6, 1, v1
	global_load_dwordx4 v[2:5], v6, s[0:1]
	global_load_ushort v7, v6, s[0:1] offset:16
	v_mbcnt_lo_u32_b32 v6, -1, 0
	s_movk_i32 s0, 0xc0
	v_lshrrev_b32_e32 v10, 6, v0
	v_and_b32_e32 v0, 0x1c0, v0
	v_mov_b32_e32 v8, 0x80
	v_mov_b32_e32 v9, 0x54
	v_mbcnt_hi_u32_b32 v6, -1, v6
	v_mul_u32_u24_e32 v10, 0x240, v10
	v_cmp_eq_u32_e32 vcc, s0, v0
	v_mul_u32_u24_e32 v11, 9, v6
	v_cndmask_b32_e32 v0, v8, v9, vcc
	v_add_lshl_u32 v6, v6, v10, 1
	v_add_u32_e32 v9, v6, v0
	v_lshlrev_b32_e32 v8, 2, v1
	v_add_lshl_u32 v1, v11, v10, 1
	v_add_u32_e32 v10, v9, v0
	v_add_u32_e32 v11, v10, v0
	;; [unrolled: 1-line block ×7, first 2 shown]
	s_lshl_b64 s[0:1], s[4:5], 2
	s_add_u32 s0, s2, s0
	s_addc_u32 s1, s3, s1
	s_waitcnt vmcnt(1)
	ds_write_b128 v1, v[2:5]
	s_waitcnt vmcnt(0)
	ds_write_b16 v1, v7 offset:16
	; wave barrier
	ds_read_i16 v0, v6
	ds_read_i16 v1, v9
	;; [unrolled: 1-line block ×9, first 2 shown]
	s_waitcnt lgkmcnt(5)
	global_store_dwordx4 v8, v[0:3], s[0:1]
	s_waitcnt lgkmcnt(1)
	global_store_dwordx4 v8, v[4:7], s[0:1] offset:16
	s_waitcnt lgkmcnt(0)
	global_store_dword v8, v9, s[0:1] offset:32
	s_endpgm
	.section	.rodata,"a",@progbits
	.p2align	6, 0x0
	.amdhsa_kernel _Z30blocked_to_warp_striped_kernelIsiLj2106ELj9EEvPT_PT0_
		.amdhsa_group_segment_fixed_size 4224
		.amdhsa_private_segment_fixed_size 0
		.amdhsa_kernarg_size 16
		.amdhsa_user_sgpr_count 6
		.amdhsa_user_sgpr_private_segment_buffer 1
		.amdhsa_user_sgpr_dispatch_ptr 0
		.amdhsa_user_sgpr_queue_ptr 0
		.amdhsa_user_sgpr_kernarg_segment_ptr 1
		.amdhsa_user_sgpr_dispatch_id 0
		.amdhsa_user_sgpr_flat_scratch_init 0
		.amdhsa_user_sgpr_kernarg_preload_length 0
		.amdhsa_user_sgpr_kernarg_preload_offset 0
		.amdhsa_user_sgpr_private_segment_size 0
		.amdhsa_uses_dynamic_stack 0
		.amdhsa_system_sgpr_private_segment_wavefront_offset 0
		.amdhsa_system_sgpr_workgroup_id_x 1
		.amdhsa_system_sgpr_workgroup_id_y 0
		.amdhsa_system_sgpr_workgroup_id_z 0
		.amdhsa_system_sgpr_workgroup_info 0
		.amdhsa_system_vgpr_workitem_id 0
		.amdhsa_next_free_vgpr 17
		.amdhsa_next_free_sgpr 8
		.amdhsa_accum_offset 20
		.amdhsa_reserve_vcc 1
		.amdhsa_reserve_flat_scratch 0
		.amdhsa_float_round_mode_32 0
		.amdhsa_float_round_mode_16_64 0
		.amdhsa_float_denorm_mode_32 3
		.amdhsa_float_denorm_mode_16_64 3
		.amdhsa_dx10_clamp 1
		.amdhsa_ieee_mode 1
		.amdhsa_fp16_overflow 0
		.amdhsa_tg_split 0
		.amdhsa_exception_fp_ieee_invalid_op 0
		.amdhsa_exception_fp_denorm_src 0
		.amdhsa_exception_fp_ieee_div_zero 0
		.amdhsa_exception_fp_ieee_overflow 0
		.amdhsa_exception_fp_ieee_underflow 0
		.amdhsa_exception_fp_ieee_inexact 0
		.amdhsa_exception_int_div_zero 0
	.end_amdhsa_kernel
	.section	.text._Z30blocked_to_warp_striped_kernelIsiLj2106ELj9EEvPT_PT0_,"axG",@progbits,_Z30blocked_to_warp_striped_kernelIsiLj2106ELj9EEvPT_PT0_,comdat
.Lfunc_end38:
	.size	_Z30blocked_to_warp_striped_kernelIsiLj2106ELj9EEvPT_PT0_, .Lfunc_end38-_Z30blocked_to_warp_striped_kernelIsiLj2106ELj9EEvPT_PT0_
                                        ; -- End function
	.section	.AMDGPU.csdata,"",@progbits
; Kernel info:
; codeLenInByte = 328
; NumSgprs: 12
; NumVgprs: 17
; NumAgprs: 0
; TotalNumVgprs: 17
; ScratchSize: 0
; MemoryBound: 0
; FloatMode: 240
; IeeeMode: 1
; LDSByteSize: 4224 bytes/workgroup (compile time only)
; SGPRBlocks: 1
; VGPRBlocks: 2
; NumSGPRsForWavesPerEU: 12
; NumVGPRsForWavesPerEU: 17
; AccumOffset: 20
; Occupancy: 8
; WaveLimiterHint : 0
; COMPUTE_PGM_RSRC2:SCRATCH_EN: 0
; COMPUTE_PGM_RSRC2:USER_SGPR: 6
; COMPUTE_PGM_RSRC2:TRAP_HANDLER: 0
; COMPUTE_PGM_RSRC2:TGID_X_EN: 1
; COMPUTE_PGM_RSRC2:TGID_Y_EN: 0
; COMPUTE_PGM_RSRC2:TGID_Z_EN: 0
; COMPUTE_PGM_RSRC2:TIDIG_COMP_CNT: 0
; COMPUTE_PGM_RSRC3_GFX90A:ACCUM_OFFSET: 4
; COMPUTE_PGM_RSRC3_GFX90A:TG_SPLIT: 0
	.section	.text._Z30blocked_to_warp_striped_kernelItjLj300ELj3EEvPT_PT0_,"axG",@progbits,_Z30blocked_to_warp_striped_kernelItjLj300ELj3EEvPT_PT0_,comdat
	.protected	_Z30blocked_to_warp_striped_kernelItjLj300ELj3EEvPT_PT0_ ; -- Begin function _Z30blocked_to_warp_striped_kernelItjLj300ELj3EEvPT_PT0_
	.globl	_Z30blocked_to_warp_striped_kernelItjLj300ELj3EEvPT_PT0_
	.p2align	8
	.type	_Z30blocked_to_warp_striped_kernelItjLj300ELj3EEvPT_PT0_,@function
_Z30blocked_to_warp_striped_kernelItjLj300ELj3EEvPT_PT0_: ; @_Z30blocked_to_warp_striped_kernelItjLj300ELj3EEvPT_PT0_
; %bb.0:
	s_load_dwordx4 s[0:3], s[4:5], 0x0
	s_mul_i32 s4, s6, 0x12c
	s_mov_b32 s5, 0
	s_lshl_b64 s[6:7], s[4:5], 1
	v_mul_u32_u24_e32 v3, 3, v0
	s_waitcnt lgkmcnt(0)
	s_add_u32 s0, s0, s6
	s_addc_u32 s1, s1, s7
	v_lshlrev_b32_e32 v1, 1, v3
	global_load_dword v2, v1, s[0:1]
	global_load_ushort v4, v1, s[0:1] offset:4
	v_mbcnt_lo_u32_b32 v1, -1, 0
	v_lshrrev_b32_e32 v7, 6, v0
	v_and_b32_e32 v0, 0x1c0, v0
	v_mov_b32_e32 v5, 0x80
	v_mov_b32_e32 v6, 0x48
	v_mbcnt_hi_u32_b32 v1, -1, v1
	v_mul_u32_u24_e32 v7, 0xc0, v7
	v_cmp_eq_u32_e32 vcc, 64, v0
	v_mul_u32_u24_e32 v8, 3, v1
	v_cndmask_b32_e32 v0, v5, v6, vcc
	v_add_lshl_u32 v1, v1, v7, 1
	v_add_lshl_u32 v5, v8, v7, 1
	v_add_u32_e32 v6, v1, v0
	v_add_u32_e32 v7, v6, v0
	s_lshl_b64 s[0:1], s[4:5], 2
	s_add_u32 s0, s2, s0
	s_addc_u32 s1, s3, s1
	v_lshlrev_b32_e32 v3, 2, v3
	s_waitcnt vmcnt(1)
	ds_write_b16 v5, v2
	ds_write_b16_d16_hi v5, v2 offset:2
	s_waitcnt vmcnt(0)
	ds_write_b16 v5, v4 offset:4
	; wave barrier
	ds_read_u16 v0, v1
	ds_read_u16 v1, v6
	;; [unrolled: 1-line block ×3, first 2 shown]
	s_waitcnt lgkmcnt(0)
	global_store_dwordx3 v3, v[0:2], s[0:1]
	s_endpgm
	.section	.rodata,"a",@progbits
	.p2align	6, 0x0
	.amdhsa_kernel _Z30blocked_to_warp_striped_kernelItjLj300ELj3EEvPT_PT0_
		.amdhsa_group_segment_fixed_size 608
		.amdhsa_private_segment_fixed_size 0
		.amdhsa_kernarg_size 16
		.amdhsa_user_sgpr_count 6
		.amdhsa_user_sgpr_private_segment_buffer 1
		.amdhsa_user_sgpr_dispatch_ptr 0
		.amdhsa_user_sgpr_queue_ptr 0
		.amdhsa_user_sgpr_kernarg_segment_ptr 1
		.amdhsa_user_sgpr_dispatch_id 0
		.amdhsa_user_sgpr_flat_scratch_init 0
		.amdhsa_user_sgpr_kernarg_preload_length 0
		.amdhsa_user_sgpr_kernarg_preload_offset 0
		.amdhsa_user_sgpr_private_segment_size 0
		.amdhsa_uses_dynamic_stack 0
		.amdhsa_system_sgpr_private_segment_wavefront_offset 0
		.amdhsa_system_sgpr_workgroup_id_x 1
		.amdhsa_system_sgpr_workgroup_id_y 0
		.amdhsa_system_sgpr_workgroup_id_z 0
		.amdhsa_system_sgpr_workgroup_info 0
		.amdhsa_system_vgpr_workitem_id 0
		.amdhsa_next_free_vgpr 9
		.amdhsa_next_free_sgpr 8
		.amdhsa_accum_offset 12
		.amdhsa_reserve_vcc 1
		.amdhsa_reserve_flat_scratch 0
		.amdhsa_float_round_mode_32 0
		.amdhsa_float_round_mode_16_64 0
		.amdhsa_float_denorm_mode_32 3
		.amdhsa_float_denorm_mode_16_64 3
		.amdhsa_dx10_clamp 1
		.amdhsa_ieee_mode 1
		.amdhsa_fp16_overflow 0
		.amdhsa_tg_split 0
		.amdhsa_exception_fp_ieee_invalid_op 0
		.amdhsa_exception_fp_denorm_src 0
		.amdhsa_exception_fp_ieee_div_zero 0
		.amdhsa_exception_fp_ieee_overflow 0
		.amdhsa_exception_fp_ieee_underflow 0
		.amdhsa_exception_fp_ieee_inexact 0
		.amdhsa_exception_int_div_zero 0
	.end_amdhsa_kernel
	.section	.text._Z30blocked_to_warp_striped_kernelItjLj300ELj3EEvPT_PT0_,"axG",@progbits,_Z30blocked_to_warp_striped_kernelItjLj300ELj3EEvPT_PT0_,comdat
.Lfunc_end39:
	.size	_Z30blocked_to_warp_striped_kernelItjLj300ELj3EEvPT_PT0_, .Lfunc_end39-_Z30blocked_to_warp_striped_kernelItjLj300ELj3EEvPT_PT0_
                                        ; -- End function
	.section	.AMDGPU.csdata,"",@progbits
; Kernel info:
; codeLenInByte = 236
; NumSgprs: 12
; NumVgprs: 9
; NumAgprs: 0
; TotalNumVgprs: 9
; ScratchSize: 0
; MemoryBound: 0
; FloatMode: 240
; IeeeMode: 1
; LDSByteSize: 608 bytes/workgroup (compile time only)
; SGPRBlocks: 1
; VGPRBlocks: 1
; NumSGPRsForWavesPerEU: 12
; NumVGPRsForWavesPerEU: 9
; AccumOffset: 12
; Occupancy: 8
; WaveLimiterHint : 0
; COMPUTE_PGM_RSRC2:SCRATCH_EN: 0
; COMPUTE_PGM_RSRC2:USER_SGPR: 6
; COMPUTE_PGM_RSRC2:TRAP_HANDLER: 0
; COMPUTE_PGM_RSRC2:TGID_X_EN: 1
; COMPUTE_PGM_RSRC2:TGID_Y_EN: 0
; COMPUTE_PGM_RSRC2:TGID_Z_EN: 0
; COMPUTE_PGM_RSRC2:TIDIG_COMP_CNT: 0
; COMPUTE_PGM_RSRC3_GFX90A:ACCUM_OFFSET: 2
; COMPUTE_PGM_RSRC3_GFX90A:TG_SPLIT: 0
	.section	.text._Z30blocked_to_warp_striped_kernelIc5dummyIdELj928ELj2EEvPT_PT0_,"axG",@progbits,_Z30blocked_to_warp_striped_kernelIc5dummyIdELj928ELj2EEvPT_PT0_,comdat
	.protected	_Z30blocked_to_warp_striped_kernelIc5dummyIdELj928ELj2EEvPT_PT0_ ; -- Begin function _Z30blocked_to_warp_striped_kernelIc5dummyIdELj928ELj2EEvPT_PT0_
	.globl	_Z30blocked_to_warp_striped_kernelIc5dummyIdELj928ELj2EEvPT_PT0_
	.p2align	8
	.type	_Z30blocked_to_warp_striped_kernelIc5dummyIdELj928ELj2EEvPT_PT0_,@function
_Z30blocked_to_warp_striped_kernelIc5dummyIdELj928ELj2EEvPT_PT0_: ; @_Z30blocked_to_warp_striped_kernelIc5dummyIdELj928ELj2EEvPT_PT0_
; %bb.0:
	s_load_dwordx4 s[0:3], s[4:5], 0x0
	s_mul_i32 s4, s6, 0x3a0
	v_lshlrev_b32_e32 v1, 1, v0
	v_mbcnt_lo_u32_b32 v3, -1, 0
	v_and_b32_e32 v4, 0x1c0, v0
	s_waitcnt lgkmcnt(0)
	s_add_u32 s0, s0, s4
	s_addc_u32 s1, s1, 0
	global_load_ushort v2, v1, s[0:1]
	s_movk_i32 s0, 0x1c0
	v_mbcnt_hi_u32_b32 v3, -1, v3
	v_and_b32_e32 v1, 0x380, v1
	v_cmp_eq_u32_e32 vcc, s0, v4
	v_lshlrev_b32_e32 v8, 5, v0
	v_add_u32_e32 v0, v3, v4
	v_cndmask_b32_e64 v4, 64, 16, vcc
	v_or_b32_e32 v3, v3, v1
	v_lshrrev_b32_e32 v1, 5, v1
	v_lshrrev_b32_e32 v5, 4, v0
	v_add_u32_e32 v1, v1, v3
	v_add_u32_e32 v3, v3, v4
	v_and_b32_e32 v5, 60, v5
	v_lshrrev_b32_e32 v4, 5, v3
	v_lshl_add_u32 v0, v0, 1, v5
	v_and_b32_e32 v4, 60, v4
	v_add_u32_e32 v3, v4, v3
	s_mov_b32 s5, 0
	s_lshl_b64 s[0:1], s[4:5], 4
	s_add_u32 s0, s2, s0
	s_addc_u32 s1, s3, s1
	s_waitcnt vmcnt(0)
	v_lshrrev_b16_e32 v4, 8, v2
	ds_write_b8 v0, v2
	ds_write_b8 v0, v4 offset:1
	; wave barrier
	ds_read_i8 v0, v1
	ds_read_i8 v1, v3
	s_waitcnt lgkmcnt(1)
	v_add_u32_e32 v2, 1, v0
	v_lshlrev_b32_e32 v3, 1, v0
	s_waitcnt lgkmcnt(0)
	v_add_u32_e32 v4, 1, v1
	v_lshlrev_b32_e32 v6, 1, v1
	v_cvt_f64_i32_e32 v[0:1], v2
	v_cvt_f64_i32_e32 v[2:3], v3
	;; [unrolled: 1-line block ×4, first 2 shown]
	global_store_dwordx4 v8, v[0:3], s[0:1]
	global_store_dwordx4 v8, v[4:7], s[0:1] offset:16
	s_endpgm
	.section	.rodata,"a",@progbits
	.p2align	6, 0x0
	.amdhsa_kernel _Z30blocked_to_warp_striped_kernelIc5dummyIdELj928ELj2EEvPT_PT0_
		.amdhsa_group_segment_fixed_size 960
		.amdhsa_private_segment_fixed_size 0
		.amdhsa_kernarg_size 16
		.amdhsa_user_sgpr_count 6
		.amdhsa_user_sgpr_private_segment_buffer 1
		.amdhsa_user_sgpr_dispatch_ptr 0
		.amdhsa_user_sgpr_queue_ptr 0
		.amdhsa_user_sgpr_kernarg_segment_ptr 1
		.amdhsa_user_sgpr_dispatch_id 0
		.amdhsa_user_sgpr_flat_scratch_init 0
		.amdhsa_user_sgpr_kernarg_preload_length 0
		.amdhsa_user_sgpr_kernarg_preload_offset 0
		.amdhsa_user_sgpr_private_segment_size 0
		.amdhsa_uses_dynamic_stack 0
		.amdhsa_system_sgpr_private_segment_wavefront_offset 0
		.amdhsa_system_sgpr_workgroup_id_x 1
		.amdhsa_system_sgpr_workgroup_id_y 0
		.amdhsa_system_sgpr_workgroup_id_z 0
		.amdhsa_system_sgpr_workgroup_info 0
		.amdhsa_system_vgpr_workitem_id 0
		.amdhsa_next_free_vgpr 9
		.amdhsa_next_free_sgpr 7
		.amdhsa_accum_offset 12
		.amdhsa_reserve_vcc 1
		.amdhsa_reserve_flat_scratch 0
		.amdhsa_float_round_mode_32 0
		.amdhsa_float_round_mode_16_64 0
		.amdhsa_float_denorm_mode_32 3
		.amdhsa_float_denorm_mode_16_64 3
		.amdhsa_dx10_clamp 1
		.amdhsa_ieee_mode 1
		.amdhsa_fp16_overflow 0
		.amdhsa_tg_split 0
		.amdhsa_exception_fp_ieee_invalid_op 0
		.amdhsa_exception_fp_denorm_src 0
		.amdhsa_exception_fp_ieee_div_zero 0
		.amdhsa_exception_fp_ieee_overflow 0
		.amdhsa_exception_fp_ieee_underflow 0
		.amdhsa_exception_fp_ieee_inexact 0
		.amdhsa_exception_int_div_zero 0
	.end_amdhsa_kernel
	.section	.text._Z30blocked_to_warp_striped_kernelIc5dummyIdELj928ELj2EEvPT_PT0_,"axG",@progbits,_Z30blocked_to_warp_striped_kernelIc5dummyIdELj928ELj2EEvPT_PT0_,comdat
.Lfunc_end40:
	.size	_Z30blocked_to_warp_striped_kernelIc5dummyIdELj928ELj2EEvPT_PT0_, .Lfunc_end40-_Z30blocked_to_warp_striped_kernelIc5dummyIdELj928ELj2EEvPT_PT0_
                                        ; -- End function
	.section	.AMDGPU.csdata,"",@progbits
; Kernel info:
; codeLenInByte = 256
; NumSgprs: 11
; NumVgprs: 9
; NumAgprs: 0
; TotalNumVgprs: 9
; ScratchSize: 0
; MemoryBound: 0
; FloatMode: 240
; IeeeMode: 1
; LDSByteSize: 960 bytes/workgroup (compile time only)
; SGPRBlocks: 1
; VGPRBlocks: 1
; NumSGPRsForWavesPerEU: 11
; NumVGPRsForWavesPerEU: 9
; AccumOffset: 12
; Occupancy: 8
; WaveLimiterHint : 0
; COMPUTE_PGM_RSRC2:SCRATCH_EN: 0
; COMPUTE_PGM_RSRC2:USER_SGPR: 6
; COMPUTE_PGM_RSRC2:TRAP_HANDLER: 0
; COMPUTE_PGM_RSRC2:TGID_X_EN: 1
; COMPUTE_PGM_RSRC2:TGID_Y_EN: 0
; COMPUTE_PGM_RSRC2:TGID_Z_EN: 0
; COMPUTE_PGM_RSRC2:TIDIG_COMP_CNT: 0
; COMPUTE_PGM_RSRC3_GFX90A:ACCUM_OFFSET: 2
; COMPUTE_PGM_RSRC3_GFX90A:TG_SPLIT: 0
	.section	.text._Z30blocked_to_warp_striped_kernelIfiLj165ELj5EEvPT_PT0_,"axG",@progbits,_Z30blocked_to_warp_striped_kernelIfiLj165ELj5EEvPT_PT0_,comdat
	.protected	_Z30blocked_to_warp_striped_kernelIfiLj165ELj5EEvPT_PT0_ ; -- Begin function _Z30blocked_to_warp_striped_kernelIfiLj165ELj5EEvPT_PT0_
	.globl	_Z30blocked_to_warp_striped_kernelIfiLj165ELj5EEvPT_PT0_
	.p2align	8
	.type	_Z30blocked_to_warp_striped_kernelIfiLj165ELj5EEvPT_PT0_,@function
_Z30blocked_to_warp_striped_kernelIfiLj165ELj5EEvPT_PT0_: ; @_Z30blocked_to_warp_striped_kernelIfiLj165ELj5EEvPT_PT0_
; %bb.0:
	s_load_dwordx4 s[0:3], s[4:5], 0x0
	s_mul_i32 s4, s6, 0xa5
	s_mov_b32 s5, 0
	s_lshl_b64 s[4:5], s[4:5], 2
	v_mul_u32_u24_e32 v1, 5, v0
	s_waitcnt lgkmcnt(0)
	s_add_u32 s0, s0, s4
	s_addc_u32 s1, s1, s5
	v_lshlrev_b32_e32 v6, 2, v1
	global_load_dwordx4 v[2:5], v6, s[0:1]
	global_load_dword v1, v6, s[0:1] offset:16
	v_mbcnt_lo_u32_b32 v7, -1, 0
	v_mov_b32_e32 v8, 0x100
	v_mov_b32_e32 v9, 0x84
	v_lshrrev_b32_e32 v10, 6, v0
	v_cmp_gt_u32_e32 vcc, 64, v0
	v_mbcnt_hi_u32_b32 v7, -1, v7
	v_cndmask_b32_e32 v0, v8, v9, vcc
	v_mul_u32_u24_e32 v8, 0x140, v10
	v_mul_u32_u24_e32 v9, 5, v7
	v_add_lshl_u32 v7, v7, v8, 2
	v_add_lshl_u32 v9, v9, v8, 2
	v_add_u32_e32 v8, v7, v0
	v_add_u32_e32 v10, v8, v0
	;; [unrolled: 1-line block ×4, first 2 shown]
	s_add_u32 s0, s2, s4
	s_addc_u32 s1, s3, s5
	s_waitcnt vmcnt(1)
	ds_write2_b32 v9, v2, v3 offset1:1
	ds_write2_b32 v9, v4, v5 offset0:2 offset1:3
	s_waitcnt vmcnt(0)
	ds_write_b32 v9, v1 offset:16
	; wave barrier
	ds_read_b32 v2, v7
	ds_read_b32 v1, v8
	;; [unrolled: 1-line block ×5, first 2 shown]
	s_waitcnt lgkmcnt(4)
	v_cvt_i32_f32_e32 v0, v2
	s_waitcnt lgkmcnt(3)
	v_cvt_i32_f32_e32 v1, v1
	;; [unrolled: 2-line block ×5, first 2 shown]
	global_store_dwordx4 v6, v[0:3], s[0:1]
	global_store_dword v6, v4, s[0:1] offset:16
	s_endpgm
	.section	.rodata,"a",@progbits
	.p2align	6, 0x0
	.amdhsa_kernel _Z30blocked_to_warp_striped_kernelIfiLj165ELj5EEvPT_PT0_
		.amdhsa_group_segment_fixed_size 672
		.amdhsa_private_segment_fixed_size 0
		.amdhsa_kernarg_size 16
		.amdhsa_user_sgpr_count 6
		.amdhsa_user_sgpr_private_segment_buffer 1
		.amdhsa_user_sgpr_dispatch_ptr 0
		.amdhsa_user_sgpr_queue_ptr 0
		.amdhsa_user_sgpr_kernarg_segment_ptr 1
		.amdhsa_user_sgpr_dispatch_id 0
		.amdhsa_user_sgpr_flat_scratch_init 0
		.amdhsa_user_sgpr_kernarg_preload_length 0
		.amdhsa_user_sgpr_kernarg_preload_offset 0
		.amdhsa_user_sgpr_private_segment_size 0
		.amdhsa_uses_dynamic_stack 0
		.amdhsa_system_sgpr_private_segment_wavefront_offset 0
		.amdhsa_system_sgpr_workgroup_id_x 1
		.amdhsa_system_sgpr_workgroup_id_y 0
		.amdhsa_system_sgpr_workgroup_id_z 0
		.amdhsa_system_sgpr_workgroup_info 0
		.amdhsa_system_vgpr_workitem_id 0
		.amdhsa_next_free_vgpr 12
		.amdhsa_next_free_sgpr 7
		.amdhsa_accum_offset 12
		.amdhsa_reserve_vcc 1
		.amdhsa_reserve_flat_scratch 0
		.amdhsa_float_round_mode_32 0
		.amdhsa_float_round_mode_16_64 0
		.amdhsa_float_denorm_mode_32 3
		.amdhsa_float_denorm_mode_16_64 3
		.amdhsa_dx10_clamp 1
		.amdhsa_ieee_mode 1
		.amdhsa_fp16_overflow 0
		.amdhsa_tg_split 0
		.amdhsa_exception_fp_ieee_invalid_op 0
		.amdhsa_exception_fp_denorm_src 0
		.amdhsa_exception_fp_ieee_div_zero 0
		.amdhsa_exception_fp_ieee_overflow 0
		.amdhsa_exception_fp_ieee_underflow 0
		.amdhsa_exception_fp_ieee_inexact 0
		.amdhsa_exception_int_div_zero 0
	.end_amdhsa_kernel
	.section	.text._Z30blocked_to_warp_striped_kernelIfiLj165ELj5EEvPT_PT0_,"axG",@progbits,_Z30blocked_to_warp_striped_kernelIfiLj165ELj5EEvPT_PT0_,comdat
.Lfunc_end41:
	.size	_Z30blocked_to_warp_striped_kernelIfiLj165ELj5EEvPT_PT0_, .Lfunc_end41-_Z30blocked_to_warp_striped_kernelIfiLj165ELj5EEvPT_PT0_
                                        ; -- End function
	.section	.AMDGPU.csdata,"",@progbits
; Kernel info:
; codeLenInByte = 288
; NumSgprs: 11
; NumVgprs: 12
; NumAgprs: 0
; TotalNumVgprs: 12
; ScratchSize: 0
; MemoryBound: 0
; FloatMode: 240
; IeeeMode: 1
; LDSByteSize: 672 bytes/workgroup (compile time only)
; SGPRBlocks: 1
; VGPRBlocks: 1
; NumSGPRsForWavesPerEU: 11
; NumVGPRsForWavesPerEU: 12
; AccumOffset: 12
; Occupancy: 8
; WaveLimiterHint : 0
; COMPUTE_PGM_RSRC2:SCRATCH_EN: 0
; COMPUTE_PGM_RSRC2:USER_SGPR: 6
; COMPUTE_PGM_RSRC2:TRAP_HANDLER: 0
; COMPUTE_PGM_RSRC2:TGID_X_EN: 1
; COMPUTE_PGM_RSRC2:TGID_Y_EN: 0
; COMPUTE_PGM_RSRC2:TGID_Z_EN: 0
; COMPUTE_PGM_RSRC2:TIDIG_COMP_CNT: 0
; COMPUTE_PGM_RSRC3_GFX90A:ACCUM_OFFSET: 2
; COMPUTE_PGM_RSRC3_GFX90A:TG_SPLIT: 0
	.section	.text._Z30blocked_to_warp_striped_kernelIidLj165ELj5EEvPT_PT0_,"axG",@progbits,_Z30blocked_to_warp_striped_kernelIidLj165ELj5EEvPT_PT0_,comdat
	.protected	_Z30blocked_to_warp_striped_kernelIidLj165ELj5EEvPT_PT0_ ; -- Begin function _Z30blocked_to_warp_striped_kernelIidLj165ELj5EEvPT_PT0_
	.globl	_Z30blocked_to_warp_striped_kernelIidLj165ELj5EEvPT_PT0_
	.p2align	8
	.type	_Z30blocked_to_warp_striped_kernelIidLj165ELj5EEvPT_PT0_,@function
_Z30blocked_to_warp_striped_kernelIidLj165ELj5EEvPT_PT0_: ; @_Z30blocked_to_warp_striped_kernelIidLj165ELj5EEvPT_PT0_
; %bb.0:
	s_load_dwordx4 s[0:3], s[4:5], 0x0
	s_mul_i32 s4, s6, 0xa5
	s_mov_b32 s5, 0
	s_lshl_b64 s[6:7], s[4:5], 2
	v_mul_u32_u24_e32 v1, 5, v0
	s_waitcnt lgkmcnt(0)
	s_add_u32 s0, s0, s6
	s_addc_u32 s1, s1, s7
	v_lshlrev_b32_e32 v6, 2, v1
	global_load_dwordx4 v[2:5], v6, s[0:1]
	global_load_dword v7, v6, s[0:1] offset:16
	v_mbcnt_lo_u32_b32 v6, -1, 0
	v_mov_b32_e32 v8, 0x100
	v_mov_b32_e32 v9, 0x84
	v_lshrrev_b32_e32 v10, 6, v0
	v_cmp_gt_u32_e32 vcc, 64, v0
	v_mbcnt_hi_u32_b32 v6, -1, v6
	v_cndmask_b32_e32 v0, v8, v9, vcc
	v_mul_u32_u24_e32 v8, 0x140, v10
	v_mul_u32_u24_e32 v9, 5, v6
	v_add_lshl_u32 v6, v6, v8, 2
	v_lshlrev_b32_e32 v10, 3, v1
	v_add_lshl_u32 v1, v9, v8, 2
	v_add_u32_e32 v8, v6, v0
	v_add_u32_e32 v9, v8, v0
	;; [unrolled: 1-line block ×4, first 2 shown]
	s_lshl_b64 s[0:1], s[4:5], 3
	s_add_u32 s0, s2, s0
	s_addc_u32 s1, s3, s1
	s_waitcnt vmcnt(1)
	ds_write2_b32 v1, v2, v3 offset1:1
	ds_write2_b32 v1, v4, v5 offset0:2 offset1:3
	s_waitcnt vmcnt(0)
	ds_write_b32 v1, v7 offset:16
	; wave barrier
	ds_read_b32 v1, v6
	ds_read_b32 v2, v8
	;; [unrolled: 1-line block ×5, first 2 shown]
	s_waitcnt lgkmcnt(4)
	v_cvt_f64_i32_e32 v[0:1], v1
	s_waitcnt lgkmcnt(3)
	v_cvt_f64_i32_e32 v[2:3], v2
	;; [unrolled: 2-line block ×5, first 2 shown]
	global_store_dwordx4 v10, v[0:3], s[0:1]
	global_store_dwordx4 v10, v[4:7], s[0:1] offset:16
	global_store_dwordx2 v10, v[8:9], s[0:1] offset:32
	s_endpgm
	.section	.rodata,"a",@progbits
	.p2align	6, 0x0
	.amdhsa_kernel _Z30blocked_to_warp_striped_kernelIidLj165ELj5EEvPT_PT0_
		.amdhsa_group_segment_fixed_size 672
		.amdhsa_private_segment_fixed_size 0
		.amdhsa_kernarg_size 16
		.amdhsa_user_sgpr_count 6
		.amdhsa_user_sgpr_private_segment_buffer 1
		.amdhsa_user_sgpr_dispatch_ptr 0
		.amdhsa_user_sgpr_queue_ptr 0
		.amdhsa_user_sgpr_kernarg_segment_ptr 1
		.amdhsa_user_sgpr_dispatch_id 0
		.amdhsa_user_sgpr_flat_scratch_init 0
		.amdhsa_user_sgpr_kernarg_preload_length 0
		.amdhsa_user_sgpr_kernarg_preload_offset 0
		.amdhsa_user_sgpr_private_segment_size 0
		.amdhsa_uses_dynamic_stack 0
		.amdhsa_system_sgpr_private_segment_wavefront_offset 0
		.amdhsa_system_sgpr_workgroup_id_x 1
		.amdhsa_system_sgpr_workgroup_id_y 0
		.amdhsa_system_sgpr_workgroup_id_z 0
		.amdhsa_system_sgpr_workgroup_info 0
		.amdhsa_system_vgpr_workitem_id 0
		.amdhsa_next_free_vgpr 12
		.amdhsa_next_free_sgpr 8
		.amdhsa_accum_offset 12
		.amdhsa_reserve_vcc 1
		.amdhsa_reserve_flat_scratch 0
		.amdhsa_float_round_mode_32 0
		.amdhsa_float_round_mode_16_64 0
		.amdhsa_float_denorm_mode_32 3
		.amdhsa_float_denorm_mode_16_64 3
		.amdhsa_dx10_clamp 1
		.amdhsa_ieee_mode 1
		.amdhsa_fp16_overflow 0
		.amdhsa_tg_split 0
		.amdhsa_exception_fp_ieee_invalid_op 0
		.amdhsa_exception_fp_denorm_src 0
		.amdhsa_exception_fp_ieee_div_zero 0
		.amdhsa_exception_fp_ieee_overflow 0
		.amdhsa_exception_fp_ieee_underflow 0
		.amdhsa_exception_fp_ieee_inexact 0
		.amdhsa_exception_int_div_zero 0
	.end_amdhsa_kernel
	.section	.text._Z30blocked_to_warp_striped_kernelIidLj165ELj5EEvPT_PT0_,"axG",@progbits,_Z30blocked_to_warp_striped_kernelIidLj165ELj5EEvPT_PT0_,comdat
.Lfunc_end42:
	.size	_Z30blocked_to_warp_striped_kernelIidLj165ELj5EEvPT_PT0_, .Lfunc_end42-_Z30blocked_to_warp_striped_kernelIidLj165ELj5EEvPT_PT0_
                                        ; -- End function
	.section	.AMDGPU.csdata,"",@progbits
; Kernel info:
; codeLenInByte = 304
; NumSgprs: 12
; NumVgprs: 12
; NumAgprs: 0
; TotalNumVgprs: 12
; ScratchSize: 0
; MemoryBound: 0
; FloatMode: 240
; IeeeMode: 1
; LDSByteSize: 672 bytes/workgroup (compile time only)
; SGPRBlocks: 1
; VGPRBlocks: 1
; NumSGPRsForWavesPerEU: 12
; NumVGPRsForWavesPerEU: 12
; AccumOffset: 12
; Occupancy: 8
; WaveLimiterHint : 0
; COMPUTE_PGM_RSRC2:SCRATCH_EN: 0
; COMPUTE_PGM_RSRC2:USER_SGPR: 6
; COMPUTE_PGM_RSRC2:TRAP_HANDLER: 0
; COMPUTE_PGM_RSRC2:TGID_X_EN: 1
; COMPUTE_PGM_RSRC2:TGID_Y_EN: 0
; COMPUTE_PGM_RSRC2:TGID_Z_EN: 0
; COMPUTE_PGM_RSRC2:TIDIG_COMP_CNT: 0
; COMPUTE_PGM_RSRC3_GFX90A:ACCUM_OFFSET: 2
; COMPUTE_PGM_RSRC3_GFX90A:TG_SPLIT: 0
	.section	.text._Z30blocked_to_warp_striped_kernelIyyLj192ELj3EEvPT_PT0_,"axG",@progbits,_Z30blocked_to_warp_striped_kernelIyyLj192ELj3EEvPT_PT0_,comdat
	.protected	_Z30blocked_to_warp_striped_kernelIyyLj192ELj3EEvPT_PT0_ ; -- Begin function _Z30blocked_to_warp_striped_kernelIyyLj192ELj3EEvPT_PT0_
	.globl	_Z30blocked_to_warp_striped_kernelIyyLj192ELj3EEvPT_PT0_
	.p2align	8
	.type	_Z30blocked_to_warp_striped_kernelIyyLj192ELj3EEvPT_PT0_,@function
_Z30blocked_to_warp_striped_kernelIyyLj192ELj3EEvPT_PT0_: ; @_Z30blocked_to_warp_striped_kernelIyyLj192ELj3EEvPT_PT0_
; %bb.0:
	s_load_dwordx4 s[0:3], s[4:5], 0x0
	s_mul_i32 s4, s6, 0xc0
	s_mov_b32 s5, 0
	s_lshl_b64 s[4:5], s[4:5], 3
	v_mul_u32_u24_e32 v1, 3, v0
	s_waitcnt lgkmcnt(0)
	s_add_u32 s0, s0, s4
	s_addc_u32 s1, s1, s5
	v_lshlrev_b32_e32 v8, 3, v1
	global_load_dwordx4 v[2:5], v8, s[0:1]
	global_load_dwordx2 v[6:7], v8, s[0:1] offset:16
	v_mbcnt_lo_u32_b32 v1, -1, 0
	v_mbcnt_hi_u32_b32 v1, -1, v1
	v_lshrrev_b32_e32 v0, 6, v0
	v_mul_u32_u24_e32 v0, 0xc0, v0
	v_mul_u32_u24_e32 v9, 3, v1
	v_add_lshl_u32 v9, v9, v0, 3
	v_add_lshl_u32 v10, v1, v0, 3
	s_add_u32 s0, s2, s4
	s_addc_u32 s1, s3, s5
	s_waitcnt vmcnt(1)
	ds_write2_b64 v9, v[2:3], v[4:5] offset1:1
	s_waitcnt vmcnt(0)
	ds_write_b64 v9, v[6:7] offset:16
	; wave barrier
	ds_read2st64_b64 v[0:3], v10 offset1:1
	ds_read_b64 v[4:5], v10 offset:1024
	s_waitcnt lgkmcnt(1)
	global_store_dwordx4 v8, v[0:3], s[0:1]
	s_waitcnt lgkmcnt(0)
	global_store_dwordx2 v8, v[4:5], s[0:1] offset:16
	s_endpgm
	.section	.rodata,"a",@progbits
	.p2align	6, 0x0
	.amdhsa_kernel _Z30blocked_to_warp_striped_kernelIyyLj192ELj3EEvPT_PT0_
		.amdhsa_group_segment_fixed_size 1536
		.amdhsa_private_segment_fixed_size 0
		.amdhsa_kernarg_size 16
		.amdhsa_user_sgpr_count 6
		.amdhsa_user_sgpr_private_segment_buffer 1
		.amdhsa_user_sgpr_dispatch_ptr 0
		.amdhsa_user_sgpr_queue_ptr 0
		.amdhsa_user_sgpr_kernarg_segment_ptr 1
		.amdhsa_user_sgpr_dispatch_id 0
		.amdhsa_user_sgpr_flat_scratch_init 0
		.amdhsa_user_sgpr_kernarg_preload_length 0
		.amdhsa_user_sgpr_kernarg_preload_offset 0
		.amdhsa_user_sgpr_private_segment_size 0
		.amdhsa_uses_dynamic_stack 0
		.amdhsa_system_sgpr_private_segment_wavefront_offset 0
		.amdhsa_system_sgpr_workgroup_id_x 1
		.amdhsa_system_sgpr_workgroup_id_y 0
		.amdhsa_system_sgpr_workgroup_id_z 0
		.amdhsa_system_sgpr_workgroup_info 0
		.amdhsa_system_vgpr_workitem_id 0
		.amdhsa_next_free_vgpr 11
		.amdhsa_next_free_sgpr 7
		.amdhsa_accum_offset 12
		.amdhsa_reserve_vcc 0
		.amdhsa_reserve_flat_scratch 0
		.amdhsa_float_round_mode_32 0
		.amdhsa_float_round_mode_16_64 0
		.amdhsa_float_denorm_mode_32 3
		.amdhsa_float_denorm_mode_16_64 3
		.amdhsa_dx10_clamp 1
		.amdhsa_ieee_mode 1
		.amdhsa_fp16_overflow 0
		.amdhsa_tg_split 0
		.amdhsa_exception_fp_ieee_invalid_op 0
		.amdhsa_exception_fp_denorm_src 0
		.amdhsa_exception_fp_ieee_div_zero 0
		.amdhsa_exception_fp_ieee_overflow 0
		.amdhsa_exception_fp_ieee_underflow 0
		.amdhsa_exception_fp_ieee_inexact 0
		.amdhsa_exception_int_div_zero 0
	.end_amdhsa_kernel
	.section	.text._Z30blocked_to_warp_striped_kernelIyyLj192ELj3EEvPT_PT0_,"axG",@progbits,_Z30blocked_to_warp_striped_kernelIyyLj192ELj3EEvPT_PT0_,comdat
.Lfunc_end43:
	.size	_Z30blocked_to_warp_striped_kernelIyyLj192ELj3EEvPT_PT0_, .Lfunc_end43-_Z30blocked_to_warp_striped_kernelIyyLj192ELj3EEvPT_PT0_
                                        ; -- End function
	.section	.AMDGPU.csdata,"",@progbits
; Kernel info:
; codeLenInByte = 184
; NumSgprs: 11
; NumVgprs: 11
; NumAgprs: 0
; TotalNumVgprs: 11
; ScratchSize: 0
; MemoryBound: 0
; FloatMode: 240
; IeeeMode: 1
; LDSByteSize: 1536 bytes/workgroup (compile time only)
; SGPRBlocks: 1
; VGPRBlocks: 1
; NumSGPRsForWavesPerEU: 11
; NumVGPRsForWavesPerEU: 11
; AccumOffset: 12
; Occupancy: 8
; WaveLimiterHint : 0
; COMPUTE_PGM_RSRC2:SCRATCH_EN: 0
; COMPUTE_PGM_RSRC2:USER_SGPR: 6
; COMPUTE_PGM_RSRC2:TRAP_HANDLER: 0
; COMPUTE_PGM_RSRC2:TGID_X_EN: 1
; COMPUTE_PGM_RSRC2:TGID_Y_EN: 0
; COMPUTE_PGM_RSRC2:TGID_Z_EN: 0
; COMPUTE_PGM_RSRC2:TIDIG_COMP_CNT: 0
; COMPUTE_PGM_RSRC3_GFX90A:ACCUM_OFFSET: 2
; COMPUTE_PGM_RSRC3_GFX90A:TG_SPLIT: 0
	.section	.text._Z30blocked_to_warp_striped_kernelIiiLj384ELj3EEvPT_PT0_,"axG",@progbits,_Z30blocked_to_warp_striped_kernelIiiLj384ELj3EEvPT_PT0_,comdat
	.protected	_Z30blocked_to_warp_striped_kernelIiiLj384ELj3EEvPT_PT0_ ; -- Begin function _Z30blocked_to_warp_striped_kernelIiiLj384ELj3EEvPT_PT0_
	.globl	_Z30blocked_to_warp_striped_kernelIiiLj384ELj3EEvPT_PT0_
	.p2align	8
	.type	_Z30blocked_to_warp_striped_kernelIiiLj384ELj3EEvPT_PT0_,@function
_Z30blocked_to_warp_striped_kernelIiiLj384ELj3EEvPT_PT0_: ; @_Z30blocked_to_warp_striped_kernelIiiLj384ELj3EEvPT_PT0_
; %bb.0:
	s_load_dwordx4 s[0:3], s[4:5], 0x0
	s_mul_i32 s4, s6, 0x180
	s_mov_b32 s5, 0
	s_lshl_b64 s[4:5], s[4:5], 2
	v_mul_u32_u24_e32 v1, 3, v0
	s_waitcnt lgkmcnt(0)
	s_add_u32 s0, s0, s4
	s_addc_u32 s1, s1, s5
	v_lshlrev_b32_e32 v5, 2, v1
	global_load_dwordx3 v[2:4], v5, s[0:1]
	v_mbcnt_lo_u32_b32 v1, -1, 0
	v_mbcnt_hi_u32_b32 v1, -1, v1
	v_lshrrev_b32_e32 v0, 6, v0
	v_mul_u32_u24_e32 v0, 0xc0, v0
	v_mul_u32_u24_e32 v6, 3, v1
	v_add_lshl_u32 v6, v6, v0, 2
	v_add_lshl_u32 v7, v1, v0, 2
	s_add_u32 s0, s2, s4
	s_addc_u32 s1, s3, s5
	s_waitcnt vmcnt(0)
	ds_write2_b32 v6, v2, v3 offset1:1
	ds_write_b32 v6, v4 offset:8
	; wave barrier
	ds_read2st64_b32 v[0:1], v7 offset1:1
	ds_read_b32 v2, v7 offset:512
	s_waitcnt lgkmcnt(0)
	global_store_dwordx3 v5, v[0:2], s[0:1]
	s_endpgm
	.section	.rodata,"a",@progbits
	.p2align	6, 0x0
	.amdhsa_kernel _Z30blocked_to_warp_striped_kernelIiiLj384ELj3EEvPT_PT0_
		.amdhsa_group_segment_fixed_size 1536
		.amdhsa_private_segment_fixed_size 0
		.amdhsa_kernarg_size 16
		.amdhsa_user_sgpr_count 6
		.amdhsa_user_sgpr_private_segment_buffer 1
		.amdhsa_user_sgpr_dispatch_ptr 0
		.amdhsa_user_sgpr_queue_ptr 0
		.amdhsa_user_sgpr_kernarg_segment_ptr 1
		.amdhsa_user_sgpr_dispatch_id 0
		.amdhsa_user_sgpr_flat_scratch_init 0
		.amdhsa_user_sgpr_kernarg_preload_length 0
		.amdhsa_user_sgpr_kernarg_preload_offset 0
		.amdhsa_user_sgpr_private_segment_size 0
		.amdhsa_uses_dynamic_stack 0
		.amdhsa_system_sgpr_private_segment_wavefront_offset 0
		.amdhsa_system_sgpr_workgroup_id_x 1
		.amdhsa_system_sgpr_workgroup_id_y 0
		.amdhsa_system_sgpr_workgroup_id_z 0
		.amdhsa_system_sgpr_workgroup_info 0
		.amdhsa_system_vgpr_workitem_id 0
		.amdhsa_next_free_vgpr 8
		.amdhsa_next_free_sgpr 7
		.amdhsa_accum_offset 8
		.amdhsa_reserve_vcc 0
		.amdhsa_reserve_flat_scratch 0
		.amdhsa_float_round_mode_32 0
		.amdhsa_float_round_mode_16_64 0
		.amdhsa_float_denorm_mode_32 3
		.amdhsa_float_denorm_mode_16_64 3
		.amdhsa_dx10_clamp 1
		.amdhsa_ieee_mode 1
		.amdhsa_fp16_overflow 0
		.amdhsa_tg_split 0
		.amdhsa_exception_fp_ieee_invalid_op 0
		.amdhsa_exception_fp_denorm_src 0
		.amdhsa_exception_fp_ieee_div_zero 0
		.amdhsa_exception_fp_ieee_overflow 0
		.amdhsa_exception_fp_ieee_underflow 0
		.amdhsa_exception_fp_ieee_inexact 0
		.amdhsa_exception_int_div_zero 0
	.end_amdhsa_kernel
	.section	.text._Z30blocked_to_warp_striped_kernelIiiLj384ELj3EEvPT_PT0_,"axG",@progbits,_Z30blocked_to_warp_striped_kernelIiiLj384ELj3EEvPT_PT0_,comdat
.Lfunc_end44:
	.size	_Z30blocked_to_warp_striped_kernelIiiLj384ELj3EEvPT_PT0_, .Lfunc_end44-_Z30blocked_to_warp_striped_kernelIiiLj384ELj3EEvPT_PT0_
                                        ; -- End function
	.section	.AMDGPU.csdata,"",@progbits
; Kernel info:
; codeLenInByte = 160
; NumSgprs: 11
; NumVgprs: 8
; NumAgprs: 0
; TotalNumVgprs: 8
; ScratchSize: 0
; MemoryBound: 0
; FloatMode: 240
; IeeeMode: 1
; LDSByteSize: 1536 bytes/workgroup (compile time only)
; SGPRBlocks: 1
; VGPRBlocks: 0
; NumSGPRsForWavesPerEU: 11
; NumVGPRsForWavesPerEU: 8
; AccumOffset: 8
; Occupancy: 8
; WaveLimiterHint : 0
; COMPUTE_PGM_RSRC2:SCRATCH_EN: 0
; COMPUTE_PGM_RSRC2:USER_SGPR: 6
; COMPUTE_PGM_RSRC2:TRAP_HANDLER: 0
; COMPUTE_PGM_RSRC2:TGID_X_EN: 1
; COMPUTE_PGM_RSRC2:TGID_Y_EN: 0
; COMPUTE_PGM_RSRC2:TGID_Z_EN: 0
; COMPUTE_PGM_RSRC2:TIDIG_COMP_CNT: 0
; COMPUTE_PGM_RSRC3_GFX90A:ACCUM_OFFSET: 1
; COMPUTE_PGM_RSRC3_GFX90A:TG_SPLIT: 0
	.section	.text._Z30blocked_to_warp_striped_kernelIs5dummyIfELj896ELj7EEvPT_PT0_,"axG",@progbits,_Z30blocked_to_warp_striped_kernelIs5dummyIfELj896ELj7EEvPT_PT0_,comdat
	.protected	_Z30blocked_to_warp_striped_kernelIs5dummyIfELj896ELj7EEvPT_PT0_ ; -- Begin function _Z30blocked_to_warp_striped_kernelIs5dummyIfELj896ELj7EEvPT_PT0_
	.globl	_Z30blocked_to_warp_striped_kernelIs5dummyIfELj896ELj7EEvPT_PT0_
	.p2align	8
	.type	_Z30blocked_to_warp_striped_kernelIs5dummyIfELj896ELj7EEvPT_PT0_,@function
_Z30blocked_to_warp_striped_kernelIs5dummyIfELj896ELj7EEvPT_PT0_: ; @_Z30blocked_to_warp_striped_kernelIs5dummyIfELj896ELj7EEvPT_PT0_
; %bb.0:
	s_load_dwordx4 s[0:3], s[4:5], 0x0
	s_mul_i32 s4, s6, 0x380
	s_mov_b32 s5, 0
	s_lshl_b64 s[6:7], s[4:5], 1
	v_mul_u32_u24_e32 v1, 7, v0
	s_waitcnt lgkmcnt(0)
	s_add_u32 s0, s0, s6
	s_addc_u32 s1, s1, s7
	v_lshlrev_b32_e32 v5, 1, v1
	global_load_dwordx3 v[2:4], v5, s[0:1]
	global_load_ushort v6, v5, s[0:1] offset:12
	v_mbcnt_lo_u32_b32 v5, -1, 0
	v_mbcnt_hi_u32_b32 v5, -1, v5
	v_lshrrev_b32_e32 v0, 6, v0
	v_mul_u32_u24_e32 v0, 0x1c0, v0
	v_mul_u32_u24_e32 v7, 7, v5
	v_lshlrev_b32_e32 v14, 3, v1
	v_add_lshl_u32 v1, v7, v0, 1
	v_add_lshl_u32 v0, v5, v0, 1
	s_lshl_b64 s[0:1], s[4:5], 3
	s_add_u32 s0, s2, s0
	s_addc_u32 s1, s3, s1
	s_waitcnt vmcnt(1)
	ds_write_b96 v1, v[2:4]
	s_waitcnt vmcnt(0)
	ds_write_b16 v1, v6 offset:12
	; wave barrier
	ds_read_i16 v1, v0
	ds_read_i16 v2, v0 offset:128
	ds_read_i16 v3, v0 offset:256
	;; [unrolled: 1-line block ×6, first 2 shown]
	s_waitcnt lgkmcnt(6)
	v_add_u32_e32 v7, 1, v1
	v_lshlrev_b32_e32 v1, 1, v1
	s_waitcnt lgkmcnt(5)
	v_add_u32_e32 v8, 1, v2
	v_lshlrev_b32_e32 v2, 1, v2
	s_waitcnt lgkmcnt(4)
	v_add_u32_e32 v9, 1, v3
	v_lshlrev_b32_e32 v10, 1, v3
	s_waitcnt lgkmcnt(3)
	v_add_u32_e32 v11, 1, v4
	v_lshlrev_b32_e32 v12, 1, v4
	s_waitcnt lgkmcnt(0)
	v_add_u32_e32 v18, 1, v0
	v_lshlrev_b32_e32 v19, 1, v0
	v_cvt_f32_i32_e32 v1, v1
	v_cvt_f32_i32_e32 v0, v7
	v_cvt_f32_i32_e32 v3, v2
	v_cvt_f32_i32_e32 v2, v8
	v_add_u32_e32 v13, 1, v5
	v_lshlrev_b32_e32 v15, 1, v5
	v_add_u32_e32 v16, 1, v6
	v_lshlrev_b32_e32 v17, 1, v6
	v_cvt_f32_i32_e32 v5, v10
	v_cvt_f32_i32_e32 v4, v9
	;; [unrolled: 1-line block ×10, first 2 shown]
	global_store_dwordx4 v14, v[0:3], s[0:1]
	global_store_dwordx4 v14, v[4:7], s[0:1] offset:16
	global_store_dwordx4 v14, v[8:11], s[0:1] offset:32
	global_store_dwordx2 v14, v[12:13], s[0:1] offset:48
	s_endpgm
	.section	.rodata,"a",@progbits
	.p2align	6, 0x0
	.amdhsa_kernel _Z30blocked_to_warp_striped_kernelIs5dummyIfELj896ELj7EEvPT_PT0_
		.amdhsa_group_segment_fixed_size 1792
		.amdhsa_private_segment_fixed_size 0
		.amdhsa_kernarg_size 16
		.amdhsa_user_sgpr_count 6
		.amdhsa_user_sgpr_private_segment_buffer 1
		.amdhsa_user_sgpr_dispatch_ptr 0
		.amdhsa_user_sgpr_queue_ptr 0
		.amdhsa_user_sgpr_kernarg_segment_ptr 1
		.amdhsa_user_sgpr_dispatch_id 0
		.amdhsa_user_sgpr_flat_scratch_init 0
		.amdhsa_user_sgpr_kernarg_preload_length 0
		.amdhsa_user_sgpr_kernarg_preload_offset 0
		.amdhsa_user_sgpr_private_segment_size 0
		.amdhsa_uses_dynamic_stack 0
		.amdhsa_system_sgpr_private_segment_wavefront_offset 0
		.amdhsa_system_sgpr_workgroup_id_x 1
		.amdhsa_system_sgpr_workgroup_id_y 0
		.amdhsa_system_sgpr_workgroup_id_z 0
		.amdhsa_system_sgpr_workgroup_info 0
		.amdhsa_system_vgpr_workitem_id 0
		.amdhsa_next_free_vgpr 20
		.amdhsa_next_free_sgpr 8
		.amdhsa_accum_offset 20
		.amdhsa_reserve_vcc 0
		.amdhsa_reserve_flat_scratch 0
		.amdhsa_float_round_mode_32 0
		.amdhsa_float_round_mode_16_64 0
		.amdhsa_float_denorm_mode_32 3
		.amdhsa_float_denorm_mode_16_64 3
		.amdhsa_dx10_clamp 1
		.amdhsa_ieee_mode 1
		.amdhsa_fp16_overflow 0
		.amdhsa_tg_split 0
		.amdhsa_exception_fp_ieee_invalid_op 0
		.amdhsa_exception_fp_denorm_src 0
		.amdhsa_exception_fp_ieee_div_zero 0
		.amdhsa_exception_fp_ieee_overflow 0
		.amdhsa_exception_fp_ieee_underflow 0
		.amdhsa_exception_fp_ieee_inexact 0
		.amdhsa_exception_int_div_zero 0
	.end_amdhsa_kernel
	.section	.text._Z30blocked_to_warp_striped_kernelIs5dummyIfELj896ELj7EEvPT_PT0_,"axG",@progbits,_Z30blocked_to_warp_striped_kernelIs5dummyIfELj896ELj7EEvPT_PT0_,comdat
.Lfunc_end45:
	.size	_Z30blocked_to_warp_striped_kernelIs5dummyIfELj896ELj7EEvPT_PT0_, .Lfunc_end45-_Z30blocked_to_warp_striped_kernelIs5dummyIfELj896ELj7EEvPT_PT0_
                                        ; -- End function
	.section	.AMDGPU.csdata,"",@progbits
; Kernel info:
; codeLenInByte = 372
; NumSgprs: 12
; NumVgprs: 20
; NumAgprs: 0
; TotalNumVgprs: 20
; ScratchSize: 0
; MemoryBound: 0
; FloatMode: 240
; IeeeMode: 1
; LDSByteSize: 1792 bytes/workgroup (compile time only)
; SGPRBlocks: 1
; VGPRBlocks: 2
; NumSGPRsForWavesPerEU: 12
; NumVGPRsForWavesPerEU: 20
; AccumOffset: 20
; Occupancy: 8
; WaveLimiterHint : 0
; COMPUTE_PGM_RSRC2:SCRATCH_EN: 0
; COMPUTE_PGM_RSRC2:USER_SGPR: 6
; COMPUTE_PGM_RSRC2:TRAP_HANDLER: 0
; COMPUTE_PGM_RSRC2:TGID_X_EN: 1
; COMPUTE_PGM_RSRC2:TGID_Y_EN: 0
; COMPUTE_PGM_RSRC2:TGID_Z_EN: 0
; COMPUTE_PGM_RSRC2:TIDIG_COMP_CNT: 0
; COMPUTE_PGM_RSRC3_GFX90A:ACCUM_OFFSET: 4
; COMPUTE_PGM_RSRC3_GFX90A:TG_SPLIT: 0
	.section	.text._Z30blocked_to_warp_striped_kernelIiiLj2560ELj5EEvPT_PT0_,"axG",@progbits,_Z30blocked_to_warp_striped_kernelIiiLj2560ELj5EEvPT_PT0_,comdat
	.protected	_Z30blocked_to_warp_striped_kernelIiiLj2560ELj5EEvPT_PT0_ ; -- Begin function _Z30blocked_to_warp_striped_kernelIiiLj2560ELj5EEvPT_PT0_
	.globl	_Z30blocked_to_warp_striped_kernelIiiLj2560ELj5EEvPT_PT0_
	.p2align	8
	.type	_Z30blocked_to_warp_striped_kernelIiiLj2560ELj5EEvPT_PT0_,@function
_Z30blocked_to_warp_striped_kernelIiiLj2560ELj5EEvPT_PT0_: ; @_Z30blocked_to_warp_striped_kernelIiiLj2560ELj5EEvPT_PT0_
; %bb.0:
	s_load_dwordx4 s[0:3], s[4:5], 0x0
	s_mul_i32 s4, s6, 0xa00
	s_mov_b32 s5, 0
	s_lshl_b64 s[4:5], s[4:5], 2
	v_mul_u32_u24_e32 v1, 5, v0
	s_waitcnt lgkmcnt(0)
	s_add_u32 s0, s0, s4
	s_addc_u32 s1, s1, s5
	v_lshlrev_b32_e32 v6, 2, v1
	global_load_dwordx4 v[2:5], v6, s[0:1]
	global_load_dword v1, v6, s[0:1] offset:16
	v_mbcnt_lo_u32_b32 v7, -1, 0
	v_mbcnt_hi_u32_b32 v7, -1, v7
	v_lshrrev_b32_e32 v0, 6, v0
	v_mul_u32_u24_e32 v0, 0x140, v0
	v_mul_u32_u24_e32 v8, 5, v7
	v_add_lshl_u32 v8, v8, v0, 2
	v_add_lshl_u32 v7, v7, v0, 2
	s_add_u32 s0, s2, s4
	s_addc_u32 s1, s3, s5
	s_waitcnt vmcnt(1)
	ds_write2_b32 v8, v2, v3 offset1:1
	ds_write2_b32 v8, v4, v5 offset0:2 offset1:3
	s_waitcnt vmcnt(0)
	ds_write_b32 v8, v1 offset:16
	; wave barrier
	ds_read2st64_b32 v[0:1], v7 offset1:1
	ds_read2st64_b32 v[2:3], v7 offset0:2 offset1:3
	ds_read_b32 v4, v7 offset:1024
	s_waitcnt lgkmcnt(1)
	global_store_dwordx4 v6, v[0:3], s[0:1]
	s_waitcnt lgkmcnt(0)
	global_store_dword v6, v4, s[0:1] offset:16
	s_endpgm
	.section	.rodata,"a",@progbits
	.p2align	6, 0x0
	.amdhsa_kernel _Z30blocked_to_warp_striped_kernelIiiLj2560ELj5EEvPT_PT0_
		.amdhsa_group_segment_fixed_size 10240
		.amdhsa_private_segment_fixed_size 0
		.amdhsa_kernarg_size 16
		.amdhsa_user_sgpr_count 6
		.amdhsa_user_sgpr_private_segment_buffer 1
		.amdhsa_user_sgpr_dispatch_ptr 0
		.amdhsa_user_sgpr_queue_ptr 0
		.amdhsa_user_sgpr_kernarg_segment_ptr 1
		.amdhsa_user_sgpr_dispatch_id 0
		.amdhsa_user_sgpr_flat_scratch_init 0
		.amdhsa_user_sgpr_kernarg_preload_length 0
		.amdhsa_user_sgpr_kernarg_preload_offset 0
		.amdhsa_user_sgpr_private_segment_size 0
		.amdhsa_uses_dynamic_stack 0
		.amdhsa_system_sgpr_private_segment_wavefront_offset 0
		.amdhsa_system_sgpr_workgroup_id_x 1
		.amdhsa_system_sgpr_workgroup_id_y 0
		.amdhsa_system_sgpr_workgroup_id_z 0
		.amdhsa_system_sgpr_workgroup_info 0
		.amdhsa_system_vgpr_workitem_id 0
		.amdhsa_next_free_vgpr 9
		.amdhsa_next_free_sgpr 7
		.amdhsa_accum_offset 12
		.amdhsa_reserve_vcc 0
		.amdhsa_reserve_flat_scratch 0
		.amdhsa_float_round_mode_32 0
		.amdhsa_float_round_mode_16_64 0
		.amdhsa_float_denorm_mode_32 3
		.amdhsa_float_denorm_mode_16_64 3
		.amdhsa_dx10_clamp 1
		.amdhsa_ieee_mode 1
		.amdhsa_fp16_overflow 0
		.amdhsa_tg_split 0
		.amdhsa_exception_fp_ieee_invalid_op 0
		.amdhsa_exception_fp_denorm_src 0
		.amdhsa_exception_fp_ieee_div_zero 0
		.amdhsa_exception_fp_ieee_overflow 0
		.amdhsa_exception_fp_ieee_underflow 0
		.amdhsa_exception_fp_ieee_inexact 0
		.amdhsa_exception_int_div_zero 0
	.end_amdhsa_kernel
	.section	.text._Z30blocked_to_warp_striped_kernelIiiLj2560ELj5EEvPT_PT0_,"axG",@progbits,_Z30blocked_to_warp_striped_kernelIiiLj2560ELj5EEvPT_PT0_,comdat
.Lfunc_end46:
	.size	_Z30blocked_to_warp_striped_kernelIiiLj2560ELj5EEvPT_PT0_, .Lfunc_end46-_Z30blocked_to_warp_striped_kernelIiiLj2560ELj5EEvPT_PT0_
                                        ; -- End function
	.section	.AMDGPU.csdata,"",@progbits
; Kernel info:
; codeLenInByte = 200
; NumSgprs: 11
; NumVgprs: 9
; NumAgprs: 0
; TotalNumVgprs: 9
; ScratchSize: 0
; MemoryBound: 0
; FloatMode: 240
; IeeeMode: 1
; LDSByteSize: 10240 bytes/workgroup (compile time only)
; SGPRBlocks: 1
; VGPRBlocks: 1
; NumSGPRsForWavesPerEU: 11
; NumVGPRsForWavesPerEU: 9
; AccumOffset: 12
; Occupancy: 8
; WaveLimiterHint : 0
; COMPUTE_PGM_RSRC2:SCRATCH_EN: 0
; COMPUTE_PGM_RSRC2:USER_SGPR: 6
; COMPUTE_PGM_RSRC2:TRAP_HANDLER: 0
; COMPUTE_PGM_RSRC2:TGID_X_EN: 1
; COMPUTE_PGM_RSRC2:TGID_Y_EN: 0
; COMPUTE_PGM_RSRC2:TGID_Z_EN: 0
; COMPUTE_PGM_RSRC2:TIDIG_COMP_CNT: 0
; COMPUTE_PGM_RSRC3_GFX90A:ACCUM_OFFSET: 2
; COMPUTE_PGM_RSRC3_GFX90A:TG_SPLIT: 0
	.section	.text._Z30blocked_to_warp_striped_kernelIxxLj1024ELj4EEvPT_PT0_,"axG",@progbits,_Z30blocked_to_warp_striped_kernelIxxLj1024ELj4EEvPT_PT0_,comdat
	.protected	_Z30blocked_to_warp_striped_kernelIxxLj1024ELj4EEvPT_PT0_ ; -- Begin function _Z30blocked_to_warp_striped_kernelIxxLj1024ELj4EEvPT_PT0_
	.globl	_Z30blocked_to_warp_striped_kernelIxxLj1024ELj4EEvPT_PT0_
	.p2align	8
	.type	_Z30blocked_to_warp_striped_kernelIxxLj1024ELj4EEvPT_PT0_,@function
_Z30blocked_to_warp_striped_kernelIxxLj1024ELj4EEvPT_PT0_: ; @_Z30blocked_to_warp_striped_kernelIxxLj1024ELj4EEvPT_PT0_
; %bb.0:
	s_load_dwordx4 s[0:3], s[4:5], 0x0
	s_lshl_b32 s4, s6, 10
	s_mov_b32 s5, 0
	s_lshl_b64 s[4:5], s[4:5], 3
	v_lshlrev_b32_e32 v10, 5, v0
	s_waitcnt lgkmcnt(0)
	s_add_u32 s0, s0, s4
	s_addc_u32 s1, s1, s5
	global_load_dwordx4 v[2:5], v10, s[0:1]
	global_load_dwordx4 v[6:9], v10, s[0:1] offset:16
	v_mbcnt_lo_u32_b32 v1, -1, 0
	s_movk_i32 s0, 0x700
	v_lshlrev_b32_e32 v11, 2, v0
	v_mbcnt_hi_u32_b32 v1, -1, v1
	v_and_b32_e32 v0, 0x1c0, v0
	v_add_u32_e32 v0, v1, v0
	v_and_or_b32 v1, v11, s0, v1
	v_lshlrev_b32_e32 v11, 2, v0
	v_bfe_u32 v0, v0, 3, 27
	v_lshrrev_b32_e32 v12, 5, v1
	v_add_u32_e32 v13, 64, v1
	v_or_b32_e32 v14, 0x80, v1
	v_add_u32_e32 v15, 0xc0, v1
	v_add_lshl_u32 v0, v0, v11, 3
	v_add_lshl_u32 v1, v12, v1, 3
	v_lshrrev_b32_e32 v11, 5, v13
	v_lshrrev_b32_e32 v12, 5, v14
	;; [unrolled: 1-line block ×3, first 2 shown]
	v_add_lshl_u32 v11, v11, v13, 3
	v_add_lshl_u32 v12, v12, v14, 3
	;; [unrolled: 1-line block ×3, first 2 shown]
	s_add_u32 s0, s2, s4
	s_addc_u32 s1, s3, s5
	s_waitcnt vmcnt(1)
	ds_write2_b64 v0, v[2:3], v[4:5] offset1:1
	s_waitcnt vmcnt(0)
	ds_write2_b64 v0, v[6:7], v[8:9] offset0:2 offset1:3
	; wave barrier
	ds_read_b64 v[0:1], v1
	ds_read_b64 v[2:3], v11
	;; [unrolled: 1-line block ×4, first 2 shown]
	s_waitcnt lgkmcnt(2)
	global_store_dwordx4 v10, v[0:3], s[0:1]
	s_waitcnt lgkmcnt(0)
	global_store_dwordx4 v10, v[4:7], s[0:1] offset:16
	s_endpgm
	.section	.rodata,"a",@progbits
	.p2align	6, 0x0
	.amdhsa_kernel _Z30blocked_to_warp_striped_kernelIxxLj1024ELj4EEvPT_PT0_
		.amdhsa_group_segment_fixed_size 8448
		.amdhsa_private_segment_fixed_size 0
		.amdhsa_kernarg_size 16
		.amdhsa_user_sgpr_count 6
		.amdhsa_user_sgpr_private_segment_buffer 1
		.amdhsa_user_sgpr_dispatch_ptr 0
		.amdhsa_user_sgpr_queue_ptr 0
		.amdhsa_user_sgpr_kernarg_segment_ptr 1
		.amdhsa_user_sgpr_dispatch_id 0
		.amdhsa_user_sgpr_flat_scratch_init 0
		.amdhsa_user_sgpr_kernarg_preload_length 0
		.amdhsa_user_sgpr_kernarg_preload_offset 0
		.amdhsa_user_sgpr_private_segment_size 0
		.amdhsa_uses_dynamic_stack 0
		.amdhsa_system_sgpr_private_segment_wavefront_offset 0
		.amdhsa_system_sgpr_workgroup_id_x 1
		.amdhsa_system_sgpr_workgroup_id_y 0
		.amdhsa_system_sgpr_workgroup_id_z 0
		.amdhsa_system_sgpr_workgroup_info 0
		.amdhsa_system_vgpr_workitem_id 0
		.amdhsa_next_free_vgpr 17
		.amdhsa_next_free_sgpr 7
		.amdhsa_accum_offset 20
		.amdhsa_reserve_vcc 0
		.amdhsa_reserve_flat_scratch 0
		.amdhsa_float_round_mode_32 0
		.amdhsa_float_round_mode_16_64 0
		.amdhsa_float_denorm_mode_32 3
		.amdhsa_float_denorm_mode_16_64 3
		.amdhsa_dx10_clamp 1
		.amdhsa_ieee_mode 1
		.amdhsa_fp16_overflow 0
		.amdhsa_tg_split 0
		.amdhsa_exception_fp_ieee_invalid_op 0
		.amdhsa_exception_fp_denorm_src 0
		.amdhsa_exception_fp_ieee_div_zero 0
		.amdhsa_exception_fp_ieee_overflow 0
		.amdhsa_exception_fp_ieee_underflow 0
		.amdhsa_exception_fp_ieee_inexact 0
		.amdhsa_exception_int_div_zero 0
	.end_amdhsa_kernel
	.section	.text._Z30blocked_to_warp_striped_kernelIxxLj1024ELj4EEvPT_PT0_,"axG",@progbits,_Z30blocked_to_warp_striped_kernelIxxLj1024ELj4EEvPT_PT0_,comdat
.Lfunc_end47:
	.size	_Z30blocked_to_warp_striped_kernelIxxLj1024ELj4EEvPT_PT0_, .Lfunc_end47-_Z30blocked_to_warp_striped_kernelIxxLj1024ELj4EEvPT_PT0_
                                        ; -- End function
	.section	.AMDGPU.csdata,"",@progbits
; Kernel info:
; codeLenInByte = 276
; NumSgprs: 11
; NumVgprs: 17
; NumAgprs: 0
; TotalNumVgprs: 17
; ScratchSize: 0
; MemoryBound: 0
; FloatMode: 240
; IeeeMode: 1
; LDSByteSize: 8448 bytes/workgroup (compile time only)
; SGPRBlocks: 1
; VGPRBlocks: 2
; NumSGPRsForWavesPerEU: 11
; NumVGPRsForWavesPerEU: 17
; AccumOffset: 20
; Occupancy: 8
; WaveLimiterHint : 0
; COMPUTE_PGM_RSRC2:SCRATCH_EN: 0
; COMPUTE_PGM_RSRC2:USER_SGPR: 6
; COMPUTE_PGM_RSRC2:TRAP_HANDLER: 0
; COMPUTE_PGM_RSRC2:TGID_X_EN: 1
; COMPUTE_PGM_RSRC2:TGID_Y_EN: 0
; COMPUTE_PGM_RSRC2:TGID_Z_EN: 0
; COMPUTE_PGM_RSRC2:TIDIG_COMP_CNT: 0
; COMPUTE_PGM_RSRC3_GFX90A:ACCUM_OFFSET: 4
; COMPUTE_PGM_RSRC3_GFX90A:TG_SPLIT: 0
	.section	.text._Z30blocked_to_warp_striped_kernelIiiLj128ELj2EEvPT_PT0_,"axG",@progbits,_Z30blocked_to_warp_striped_kernelIiiLj128ELj2EEvPT_PT0_,comdat
	.protected	_Z30blocked_to_warp_striped_kernelIiiLj128ELj2EEvPT_PT0_ ; -- Begin function _Z30blocked_to_warp_striped_kernelIiiLj128ELj2EEvPT_PT0_
	.globl	_Z30blocked_to_warp_striped_kernelIiiLj128ELj2EEvPT_PT0_
	.p2align	8
	.type	_Z30blocked_to_warp_striped_kernelIiiLj128ELj2EEvPT_PT0_,@function
_Z30blocked_to_warp_striped_kernelIiiLj128ELj2EEvPT_PT0_: ; @_Z30blocked_to_warp_striped_kernelIiiLj128ELj2EEvPT_PT0_
; %bb.0:
	s_load_dwordx4 s[0:3], s[4:5], 0x0
	s_lshl_b32 s4, s6, 7
	s_mov_b32 s5, 0
	s_lshl_b64 s[4:5], s[4:5], 2
	v_lshlrev_b32_e32 v4, 3, v0
	s_waitcnt lgkmcnt(0)
	s_add_u32 s0, s0, s4
	s_addc_u32 s1, s1, s5
	global_load_dwordx2 v[2:3], v4, s[0:1]
	v_mbcnt_lo_u32_b32 v1, -1, 0
	s_movk_i32 s0, 0x380
	v_lshlrev_b32_e32 v5, 1, v0
	v_mbcnt_hi_u32_b32 v1, -1, v1
	v_and_b32_e32 v0, 0x1c0, v0
	v_add_u32_e32 v0, v1, v0
	v_and_or_b32 v1, v5, s0, v1
	v_lshlrev_b32_e32 v5, 1, v0
	v_bfe_u32 v0, v0, 4, 27
	v_lshrrev_b32_e32 v6, 5, v1
	v_add_u32_e32 v7, 64, v1
	v_add_lshl_u32 v0, v0, v5, 2
	v_add_lshl_u32 v1, v6, v1, 2
	v_lshrrev_b32_e32 v5, 5, v7
	v_add_lshl_u32 v5, v5, v7, 2
	s_add_u32 s0, s2, s4
	s_addc_u32 s1, s3, s5
	s_waitcnt vmcnt(0)
	ds_write2_b32 v0, v2, v3 offset1:1
	; wave barrier
	ds_read_b32 v0, v1
	ds_read_b32 v1, v5
	s_waitcnt lgkmcnt(0)
	global_store_dwordx2 v4, v[0:1], s[0:1]
	s_endpgm
	.section	.rodata,"a",@progbits
	.p2align	6, 0x0
	.amdhsa_kernel _Z30blocked_to_warp_striped_kernelIiiLj128ELj2EEvPT_PT0_
		.amdhsa_group_segment_fixed_size 528
		.amdhsa_private_segment_fixed_size 0
		.amdhsa_kernarg_size 16
		.amdhsa_user_sgpr_count 6
		.amdhsa_user_sgpr_private_segment_buffer 1
		.amdhsa_user_sgpr_dispatch_ptr 0
		.amdhsa_user_sgpr_queue_ptr 0
		.amdhsa_user_sgpr_kernarg_segment_ptr 1
		.amdhsa_user_sgpr_dispatch_id 0
		.amdhsa_user_sgpr_flat_scratch_init 0
		.amdhsa_user_sgpr_kernarg_preload_length 0
		.amdhsa_user_sgpr_kernarg_preload_offset 0
		.amdhsa_user_sgpr_private_segment_size 0
		.amdhsa_uses_dynamic_stack 0
		.amdhsa_system_sgpr_private_segment_wavefront_offset 0
		.amdhsa_system_sgpr_workgroup_id_x 1
		.amdhsa_system_sgpr_workgroup_id_y 0
		.amdhsa_system_sgpr_workgroup_id_z 0
		.amdhsa_system_sgpr_workgroup_info 0
		.amdhsa_system_vgpr_workitem_id 0
		.amdhsa_next_free_vgpr 8
		.amdhsa_next_free_sgpr 7
		.amdhsa_accum_offset 8
		.amdhsa_reserve_vcc 0
		.amdhsa_reserve_flat_scratch 0
		.amdhsa_float_round_mode_32 0
		.amdhsa_float_round_mode_16_64 0
		.amdhsa_float_denorm_mode_32 3
		.amdhsa_float_denorm_mode_16_64 3
		.amdhsa_dx10_clamp 1
		.amdhsa_ieee_mode 1
		.amdhsa_fp16_overflow 0
		.amdhsa_tg_split 0
		.amdhsa_exception_fp_ieee_invalid_op 0
		.amdhsa_exception_fp_denorm_src 0
		.amdhsa_exception_fp_ieee_div_zero 0
		.amdhsa_exception_fp_ieee_overflow 0
		.amdhsa_exception_fp_ieee_underflow 0
		.amdhsa_exception_fp_ieee_inexact 0
		.amdhsa_exception_int_div_zero 0
	.end_amdhsa_kernel
	.section	.text._Z30blocked_to_warp_striped_kernelIiiLj128ELj2EEvPT_PT0_,"axG",@progbits,_Z30blocked_to_warp_striped_kernelIiiLj128ELj2EEvPT_PT0_,comdat
.Lfunc_end48:
	.size	_Z30blocked_to_warp_striped_kernelIiiLj128ELj2EEvPT_PT0_, .Lfunc_end48-_Z30blocked_to_warp_striped_kernelIiiLj128ELj2EEvPT_PT0_
                                        ; -- End function
	.section	.AMDGPU.csdata,"",@progbits
; Kernel info:
; codeLenInByte = 188
; NumSgprs: 11
; NumVgprs: 8
; NumAgprs: 0
; TotalNumVgprs: 8
; ScratchSize: 0
; MemoryBound: 0
; FloatMode: 240
; IeeeMode: 1
; LDSByteSize: 528 bytes/workgroup (compile time only)
; SGPRBlocks: 1
; VGPRBlocks: 0
; NumSGPRsForWavesPerEU: 11
; NumVGPRsForWavesPerEU: 8
; AccumOffset: 8
; Occupancy: 8
; WaveLimiterHint : 0
; COMPUTE_PGM_RSRC2:SCRATCH_EN: 0
; COMPUTE_PGM_RSRC2:USER_SGPR: 6
; COMPUTE_PGM_RSRC2:TRAP_HANDLER: 0
; COMPUTE_PGM_RSRC2:TGID_X_EN: 1
; COMPUTE_PGM_RSRC2:TGID_Y_EN: 0
; COMPUTE_PGM_RSRC2:TGID_Z_EN: 0
; COMPUTE_PGM_RSRC2:TIDIG_COMP_CNT: 0
; COMPUTE_PGM_RSRC3_GFX90A:ACCUM_OFFSET: 1
; COMPUTE_PGM_RSRC3_GFX90A:TG_SPLIT: 0
	.section	.text._Z30blocked_to_warp_striped_kernelIxxLj512ELj1EEvPT_PT0_,"axG",@progbits,_Z30blocked_to_warp_striped_kernelIxxLj512ELj1EEvPT_PT0_,comdat
	.protected	_Z30blocked_to_warp_striped_kernelIxxLj512ELj1EEvPT_PT0_ ; -- Begin function _Z30blocked_to_warp_striped_kernelIxxLj512ELj1EEvPT_PT0_
	.globl	_Z30blocked_to_warp_striped_kernelIxxLj512ELj1EEvPT_PT0_
	.p2align	8
	.type	_Z30blocked_to_warp_striped_kernelIxxLj512ELj1EEvPT_PT0_,@function
_Z30blocked_to_warp_striped_kernelIxxLj512ELj1EEvPT_PT0_: ; @_Z30blocked_to_warp_striped_kernelIxxLj512ELj1EEvPT_PT0_
; %bb.0:
	s_load_dwordx4 s[0:3], s[4:5], 0x0
	s_lshl_b32 s4, s6, 9
	s_mov_b32 s5, 0
	s_lshl_b64 s[4:5], s[4:5], 3
	v_lshlrev_b32_e32 v4, 3, v0
	s_waitcnt lgkmcnt(0)
	s_add_u32 s0, s0, s4
	s_addc_u32 s1, s1, s5
	global_load_dwordx2 v[2:3], v4, s[0:1]
	v_mbcnt_lo_u32_b32 v1, -1, 0
	v_mbcnt_hi_u32_b32 v1, -1, v1
	v_and_b32_e32 v0, 0x1c0, v0
	v_add_lshl_u32 v0, v1, v0, 3
	s_add_u32 s0, s2, s4
	s_addc_u32 s1, s3, s5
	s_waitcnt vmcnt(0)
	ds_write_b64 v0, v[2:3]
	; wave barrier
	ds_read_b64 v[0:1], v0
	s_waitcnt lgkmcnt(0)
	global_store_dwordx2 v4, v[0:1], s[0:1]
	s_endpgm
	.section	.rodata,"a",@progbits
	.p2align	6, 0x0
	.amdhsa_kernel _Z30blocked_to_warp_striped_kernelIxxLj512ELj1EEvPT_PT0_
		.amdhsa_group_segment_fixed_size 4096
		.amdhsa_private_segment_fixed_size 0
		.amdhsa_kernarg_size 16
		.amdhsa_user_sgpr_count 6
		.amdhsa_user_sgpr_private_segment_buffer 1
		.amdhsa_user_sgpr_dispatch_ptr 0
		.amdhsa_user_sgpr_queue_ptr 0
		.amdhsa_user_sgpr_kernarg_segment_ptr 1
		.amdhsa_user_sgpr_dispatch_id 0
		.amdhsa_user_sgpr_flat_scratch_init 0
		.amdhsa_user_sgpr_kernarg_preload_length 0
		.amdhsa_user_sgpr_kernarg_preload_offset 0
		.amdhsa_user_sgpr_private_segment_size 0
		.amdhsa_uses_dynamic_stack 0
		.amdhsa_system_sgpr_private_segment_wavefront_offset 0
		.amdhsa_system_sgpr_workgroup_id_x 1
		.amdhsa_system_sgpr_workgroup_id_y 0
		.amdhsa_system_sgpr_workgroup_id_z 0
		.amdhsa_system_sgpr_workgroup_info 0
		.amdhsa_system_vgpr_workitem_id 0
		.amdhsa_next_free_vgpr 5
		.amdhsa_next_free_sgpr 7
		.amdhsa_accum_offset 8
		.amdhsa_reserve_vcc 0
		.amdhsa_reserve_flat_scratch 0
		.amdhsa_float_round_mode_32 0
		.amdhsa_float_round_mode_16_64 0
		.amdhsa_float_denorm_mode_32 3
		.amdhsa_float_denorm_mode_16_64 3
		.amdhsa_dx10_clamp 1
		.amdhsa_ieee_mode 1
		.amdhsa_fp16_overflow 0
		.amdhsa_tg_split 0
		.amdhsa_exception_fp_ieee_invalid_op 0
		.amdhsa_exception_fp_denorm_src 0
		.amdhsa_exception_fp_ieee_div_zero 0
		.amdhsa_exception_fp_ieee_overflow 0
		.amdhsa_exception_fp_ieee_underflow 0
		.amdhsa_exception_fp_ieee_inexact 0
		.amdhsa_exception_int_div_zero 0
	.end_amdhsa_kernel
	.section	.text._Z30blocked_to_warp_striped_kernelIxxLj512ELj1EEvPT_PT0_,"axG",@progbits,_Z30blocked_to_warp_striped_kernelIxxLj512ELj1EEvPT_PT0_,comdat
.Lfunc_end49:
	.size	_Z30blocked_to_warp_striped_kernelIxxLj512ELj1EEvPT_PT0_, .Lfunc_end49-_Z30blocked_to_warp_striped_kernelIxxLj512ELj1EEvPT_PT0_
                                        ; -- End function
	.section	.AMDGPU.csdata,"",@progbits
; Kernel info:
; codeLenInByte = 120
; NumSgprs: 11
; NumVgprs: 5
; NumAgprs: 0
; TotalNumVgprs: 5
; ScratchSize: 0
; MemoryBound: 0
; FloatMode: 240
; IeeeMode: 1
; LDSByteSize: 4096 bytes/workgroup (compile time only)
; SGPRBlocks: 1
; VGPRBlocks: 0
; NumSGPRsForWavesPerEU: 11
; NumVGPRsForWavesPerEU: 5
; AccumOffset: 8
; Occupancy: 8
; WaveLimiterHint : 0
; COMPUTE_PGM_RSRC2:SCRATCH_EN: 0
; COMPUTE_PGM_RSRC2:USER_SGPR: 6
; COMPUTE_PGM_RSRC2:TRAP_HANDLER: 0
; COMPUTE_PGM_RSRC2:TGID_X_EN: 1
; COMPUTE_PGM_RSRC2:TGID_Y_EN: 0
; COMPUTE_PGM_RSRC2:TGID_Z_EN: 0
; COMPUTE_PGM_RSRC2:TIDIG_COMP_CNT: 0
; COMPUTE_PGM_RSRC3_GFX90A:ACCUM_OFFSET: 1
; COMPUTE_PGM_RSRC3_GFX90A:TG_SPLIT: 0
	.section	.text._Z30blocked_to_warp_striped_kernelIs5dummyIiELj256ELj1EEvPT_PT0_,"axG",@progbits,_Z30blocked_to_warp_striped_kernelIs5dummyIiELj256ELj1EEvPT_PT0_,comdat
	.protected	_Z30blocked_to_warp_striped_kernelIs5dummyIiELj256ELj1EEvPT_PT0_ ; -- Begin function _Z30blocked_to_warp_striped_kernelIs5dummyIiELj256ELj1EEvPT_PT0_
	.globl	_Z30blocked_to_warp_striped_kernelIs5dummyIiELj256ELj1EEvPT_PT0_
	.p2align	8
	.type	_Z30blocked_to_warp_striped_kernelIs5dummyIiELj256ELj1EEvPT_PT0_,@function
_Z30blocked_to_warp_striped_kernelIs5dummyIiELj256ELj1EEvPT_PT0_: ; @_Z30blocked_to_warp_striped_kernelIs5dummyIiELj256ELj1EEvPT_PT0_
; %bb.0:
	s_load_dwordx4 s[0:3], s[4:5], 0x0
	s_lshl_b32 s4, s6, 8
	s_mov_b32 s5, 0
	s_lshl_b64 s[6:7], s[4:5], 1
	v_lshlrev_b32_e32 v1, 1, v0
	s_waitcnt lgkmcnt(0)
	s_add_u32 s0, s0, s6
	s_addc_u32 s1, s1, s7
	global_load_ushort v1, v1, s[0:1]
	v_mbcnt_lo_u32_b32 v2, -1, 0
	v_mbcnt_hi_u32_b32 v2, -1, v2
	v_and_b32_e32 v3, 0x1c0, v0
	v_add_lshl_u32 v2, v2, v3, 1
	s_lshl_b64 s[0:1], s[4:5], 3
	s_add_u32 s0, s2, s0
	s_addc_u32 s1, s3, s1
	v_lshlrev_b32_e32 v0, 3, v0
	s_waitcnt vmcnt(0)
	ds_write_b16 v2, v1
	; wave barrier
	ds_read_i16 v1, v2
	s_waitcnt lgkmcnt(0)
	v_lshlrev_b32_e32 v3, 1, v1
	v_add_u32_e32 v2, 1, v1
	global_store_dwordx2 v0, v[2:3], s[0:1]
	s_endpgm
	.section	.rodata,"a",@progbits
	.p2align	6, 0x0
	.amdhsa_kernel _Z30blocked_to_warp_striped_kernelIs5dummyIiELj256ELj1EEvPT_PT0_
		.amdhsa_group_segment_fixed_size 512
		.amdhsa_private_segment_fixed_size 0
		.amdhsa_kernarg_size 16
		.amdhsa_user_sgpr_count 6
		.amdhsa_user_sgpr_private_segment_buffer 1
		.amdhsa_user_sgpr_dispatch_ptr 0
		.amdhsa_user_sgpr_queue_ptr 0
		.amdhsa_user_sgpr_kernarg_segment_ptr 1
		.amdhsa_user_sgpr_dispatch_id 0
		.amdhsa_user_sgpr_flat_scratch_init 0
		.amdhsa_user_sgpr_kernarg_preload_length 0
		.amdhsa_user_sgpr_kernarg_preload_offset 0
		.amdhsa_user_sgpr_private_segment_size 0
		.amdhsa_uses_dynamic_stack 0
		.amdhsa_system_sgpr_private_segment_wavefront_offset 0
		.amdhsa_system_sgpr_workgroup_id_x 1
		.amdhsa_system_sgpr_workgroup_id_y 0
		.amdhsa_system_sgpr_workgroup_id_z 0
		.amdhsa_system_sgpr_workgroup_info 0
		.amdhsa_system_vgpr_workitem_id 0
		.amdhsa_next_free_vgpr 4
		.amdhsa_next_free_sgpr 8
		.amdhsa_accum_offset 4
		.amdhsa_reserve_vcc 0
		.amdhsa_reserve_flat_scratch 0
		.amdhsa_float_round_mode_32 0
		.amdhsa_float_round_mode_16_64 0
		.amdhsa_float_denorm_mode_32 3
		.amdhsa_float_denorm_mode_16_64 3
		.amdhsa_dx10_clamp 1
		.amdhsa_ieee_mode 1
		.amdhsa_fp16_overflow 0
		.amdhsa_tg_split 0
		.amdhsa_exception_fp_ieee_invalid_op 0
		.amdhsa_exception_fp_denorm_src 0
		.amdhsa_exception_fp_ieee_div_zero 0
		.amdhsa_exception_fp_ieee_overflow 0
		.amdhsa_exception_fp_ieee_underflow 0
		.amdhsa_exception_fp_ieee_inexact 0
		.amdhsa_exception_int_div_zero 0
	.end_amdhsa_kernel
	.section	.text._Z30blocked_to_warp_striped_kernelIs5dummyIiELj256ELj1EEvPT_PT0_,"axG",@progbits,_Z30blocked_to_warp_striped_kernelIs5dummyIiELj256ELj1EEvPT_PT0_,comdat
.Lfunc_end50:
	.size	_Z30blocked_to_warp_striped_kernelIs5dummyIiELj256ELj1EEvPT_PT0_, .Lfunc_end50-_Z30blocked_to_warp_striped_kernelIs5dummyIiELj256ELj1EEvPT_PT0_
                                        ; -- End function
	.section	.AMDGPU.csdata,"",@progbits
; Kernel info:
; codeLenInByte = 136
; NumSgprs: 12
; NumVgprs: 4
; NumAgprs: 0
; TotalNumVgprs: 4
; ScratchSize: 0
; MemoryBound: 0
; FloatMode: 240
; IeeeMode: 1
; LDSByteSize: 512 bytes/workgroup (compile time only)
; SGPRBlocks: 1
; VGPRBlocks: 0
; NumSGPRsForWavesPerEU: 12
; NumVGPRsForWavesPerEU: 4
; AccumOffset: 4
; Occupancy: 8
; WaveLimiterHint : 0
; COMPUTE_PGM_RSRC2:SCRATCH_EN: 0
; COMPUTE_PGM_RSRC2:USER_SGPR: 6
; COMPUTE_PGM_RSRC2:TRAP_HANDLER: 0
; COMPUTE_PGM_RSRC2:TGID_X_EN: 1
; COMPUTE_PGM_RSRC2:TGID_Y_EN: 0
; COMPUTE_PGM_RSRC2:TGID_Z_EN: 0
; COMPUTE_PGM_RSRC2:TIDIG_COMP_CNT: 0
; COMPUTE_PGM_RSRC3_GFX90A:ACCUM_OFFSET: 0
; COMPUTE_PGM_RSRC3_GFX90A:TG_SPLIT: 0
	.section	.text._Z30blocked_to_warp_striped_kernelIyyLj128ELj1EEvPT_PT0_,"axG",@progbits,_Z30blocked_to_warp_striped_kernelIyyLj128ELj1EEvPT_PT0_,comdat
	.protected	_Z30blocked_to_warp_striped_kernelIyyLj128ELj1EEvPT_PT0_ ; -- Begin function _Z30blocked_to_warp_striped_kernelIyyLj128ELj1EEvPT_PT0_
	.globl	_Z30blocked_to_warp_striped_kernelIyyLj128ELj1EEvPT_PT0_
	.p2align	8
	.type	_Z30blocked_to_warp_striped_kernelIyyLj128ELj1EEvPT_PT0_,@function
_Z30blocked_to_warp_striped_kernelIyyLj128ELj1EEvPT_PT0_: ; @_Z30blocked_to_warp_striped_kernelIyyLj128ELj1EEvPT_PT0_
; %bb.0:
	s_load_dwordx4 s[0:3], s[4:5], 0x0
	s_lshl_b32 s4, s6, 7
	s_mov_b32 s5, 0
	s_lshl_b64 s[4:5], s[4:5], 3
	v_lshlrev_b32_e32 v4, 3, v0
	s_waitcnt lgkmcnt(0)
	s_add_u32 s0, s0, s4
	s_addc_u32 s1, s1, s5
	global_load_dwordx2 v[2:3], v4, s[0:1]
	v_mbcnt_lo_u32_b32 v1, -1, 0
	v_mbcnt_hi_u32_b32 v1, -1, v1
	v_and_b32_e32 v0, 0x1c0, v0
	v_add_lshl_u32 v0, v1, v0, 3
	s_add_u32 s0, s2, s4
	s_addc_u32 s1, s3, s5
	s_waitcnt vmcnt(0)
	ds_write_b64 v0, v[2:3]
	; wave barrier
	ds_read_b64 v[0:1], v0
	s_waitcnt lgkmcnt(0)
	global_store_dwordx2 v4, v[0:1], s[0:1]
	s_endpgm
	.section	.rodata,"a",@progbits
	.p2align	6, 0x0
	.amdhsa_kernel _Z30blocked_to_warp_striped_kernelIyyLj128ELj1EEvPT_PT0_
		.amdhsa_group_segment_fixed_size 1024
		.amdhsa_private_segment_fixed_size 0
		.amdhsa_kernarg_size 16
		.amdhsa_user_sgpr_count 6
		.amdhsa_user_sgpr_private_segment_buffer 1
		.amdhsa_user_sgpr_dispatch_ptr 0
		.amdhsa_user_sgpr_queue_ptr 0
		.amdhsa_user_sgpr_kernarg_segment_ptr 1
		.amdhsa_user_sgpr_dispatch_id 0
		.amdhsa_user_sgpr_flat_scratch_init 0
		.amdhsa_user_sgpr_kernarg_preload_length 0
		.amdhsa_user_sgpr_kernarg_preload_offset 0
		.amdhsa_user_sgpr_private_segment_size 0
		.amdhsa_uses_dynamic_stack 0
		.amdhsa_system_sgpr_private_segment_wavefront_offset 0
		.amdhsa_system_sgpr_workgroup_id_x 1
		.amdhsa_system_sgpr_workgroup_id_y 0
		.amdhsa_system_sgpr_workgroup_id_z 0
		.amdhsa_system_sgpr_workgroup_info 0
		.amdhsa_system_vgpr_workitem_id 0
		.amdhsa_next_free_vgpr 5
		.amdhsa_next_free_sgpr 7
		.amdhsa_accum_offset 8
		.amdhsa_reserve_vcc 0
		.amdhsa_reserve_flat_scratch 0
		.amdhsa_float_round_mode_32 0
		.amdhsa_float_round_mode_16_64 0
		.amdhsa_float_denorm_mode_32 3
		.amdhsa_float_denorm_mode_16_64 3
		.amdhsa_dx10_clamp 1
		.amdhsa_ieee_mode 1
		.amdhsa_fp16_overflow 0
		.amdhsa_tg_split 0
		.amdhsa_exception_fp_ieee_invalid_op 0
		.amdhsa_exception_fp_denorm_src 0
		.amdhsa_exception_fp_ieee_div_zero 0
		.amdhsa_exception_fp_ieee_overflow 0
		.amdhsa_exception_fp_ieee_underflow 0
		.amdhsa_exception_fp_ieee_inexact 0
		.amdhsa_exception_int_div_zero 0
	.end_amdhsa_kernel
	.section	.text._Z30blocked_to_warp_striped_kernelIyyLj128ELj1EEvPT_PT0_,"axG",@progbits,_Z30blocked_to_warp_striped_kernelIyyLj128ELj1EEvPT_PT0_,comdat
.Lfunc_end51:
	.size	_Z30blocked_to_warp_striped_kernelIyyLj128ELj1EEvPT_PT0_, .Lfunc_end51-_Z30blocked_to_warp_striped_kernelIyyLj128ELj1EEvPT_PT0_
                                        ; -- End function
	.section	.AMDGPU.csdata,"",@progbits
; Kernel info:
; codeLenInByte = 120
; NumSgprs: 11
; NumVgprs: 5
; NumAgprs: 0
; TotalNumVgprs: 5
; ScratchSize: 0
; MemoryBound: 0
; FloatMode: 240
; IeeeMode: 1
; LDSByteSize: 1024 bytes/workgroup (compile time only)
; SGPRBlocks: 1
; VGPRBlocks: 0
; NumSGPRsForWavesPerEU: 11
; NumVGPRsForWavesPerEU: 5
; AccumOffset: 8
; Occupancy: 8
; WaveLimiterHint : 0
; COMPUTE_PGM_RSRC2:SCRATCH_EN: 0
; COMPUTE_PGM_RSRC2:USER_SGPR: 6
; COMPUTE_PGM_RSRC2:TRAP_HANDLER: 0
; COMPUTE_PGM_RSRC2:TGID_X_EN: 1
; COMPUTE_PGM_RSRC2:TGID_Y_EN: 0
; COMPUTE_PGM_RSRC2:TGID_Z_EN: 0
; COMPUTE_PGM_RSRC2:TIDIG_COMP_CNT: 0
; COMPUTE_PGM_RSRC3_GFX90A:ACCUM_OFFSET: 1
; COMPUTE_PGM_RSRC3_GFX90A:TG_SPLIT: 0
	.section	.text._Z30blocked_to_warp_striped_kernelIixLj64ELj1EEvPT_PT0_,"axG",@progbits,_Z30blocked_to_warp_striped_kernelIixLj64ELj1EEvPT_PT0_,comdat
	.protected	_Z30blocked_to_warp_striped_kernelIixLj64ELj1EEvPT_PT0_ ; -- Begin function _Z30blocked_to_warp_striped_kernelIixLj64ELj1EEvPT_PT0_
	.globl	_Z30blocked_to_warp_striped_kernelIixLj64ELj1EEvPT_PT0_
	.p2align	8
	.type	_Z30blocked_to_warp_striped_kernelIixLj64ELj1EEvPT_PT0_,@function
_Z30blocked_to_warp_striped_kernelIixLj64ELj1EEvPT_PT0_: ; @_Z30blocked_to_warp_striped_kernelIixLj64ELj1EEvPT_PT0_
; %bb.0:
	s_load_dwordx4 s[0:3], s[4:5], 0x0
	s_lshl_b32 s4, s6, 6
	s_mov_b32 s5, 0
	s_lshl_b64 s[6:7], s[4:5], 2
	v_lshlrev_b32_e32 v1, 2, v0
	s_waitcnt lgkmcnt(0)
	s_add_u32 s0, s0, s6
	s_addc_u32 s1, s1, s7
	global_load_dword v1, v1, s[0:1]
	v_mbcnt_lo_u32_b32 v2, -1, 0
	v_mbcnt_hi_u32_b32 v2, -1, v2
	v_and_b32_e32 v3, 0x1c0, v0
	v_add_lshl_u32 v2, v2, v3, 2
	s_lshl_b64 s[0:1], s[4:5], 3
	s_add_u32 s0, s2, s0
	s_addc_u32 s1, s3, s1
	v_lshlrev_b32_e32 v0, 3, v0
	s_waitcnt vmcnt(0)
	ds_write_b32 v2, v1
	; wave barrier
	ds_read_b32 v2, v2
	s_waitcnt lgkmcnt(0)
	v_ashrrev_i32_e32 v3, 31, v2
	global_store_dwordx2 v0, v[2:3], s[0:1]
	s_endpgm
	.section	.rodata,"a",@progbits
	.p2align	6, 0x0
	.amdhsa_kernel _Z30blocked_to_warp_striped_kernelIixLj64ELj1EEvPT_PT0_
		.amdhsa_group_segment_fixed_size 256
		.amdhsa_private_segment_fixed_size 0
		.amdhsa_kernarg_size 16
		.amdhsa_user_sgpr_count 6
		.amdhsa_user_sgpr_private_segment_buffer 1
		.amdhsa_user_sgpr_dispatch_ptr 0
		.amdhsa_user_sgpr_queue_ptr 0
		.amdhsa_user_sgpr_kernarg_segment_ptr 1
		.amdhsa_user_sgpr_dispatch_id 0
		.amdhsa_user_sgpr_flat_scratch_init 0
		.amdhsa_user_sgpr_kernarg_preload_length 0
		.amdhsa_user_sgpr_kernarg_preload_offset 0
		.amdhsa_user_sgpr_private_segment_size 0
		.amdhsa_uses_dynamic_stack 0
		.amdhsa_system_sgpr_private_segment_wavefront_offset 0
		.amdhsa_system_sgpr_workgroup_id_x 1
		.amdhsa_system_sgpr_workgroup_id_y 0
		.amdhsa_system_sgpr_workgroup_id_z 0
		.amdhsa_system_sgpr_workgroup_info 0
		.amdhsa_system_vgpr_workitem_id 0
		.amdhsa_next_free_vgpr 4
		.amdhsa_next_free_sgpr 8
		.amdhsa_accum_offset 4
		.amdhsa_reserve_vcc 0
		.amdhsa_reserve_flat_scratch 0
		.amdhsa_float_round_mode_32 0
		.amdhsa_float_round_mode_16_64 0
		.amdhsa_float_denorm_mode_32 3
		.amdhsa_float_denorm_mode_16_64 3
		.amdhsa_dx10_clamp 1
		.amdhsa_ieee_mode 1
		.amdhsa_fp16_overflow 0
		.amdhsa_tg_split 0
		.amdhsa_exception_fp_ieee_invalid_op 0
		.amdhsa_exception_fp_denorm_src 0
		.amdhsa_exception_fp_ieee_div_zero 0
		.amdhsa_exception_fp_ieee_overflow 0
		.amdhsa_exception_fp_ieee_underflow 0
		.amdhsa_exception_fp_ieee_inexact 0
		.amdhsa_exception_int_div_zero 0
	.end_amdhsa_kernel
	.section	.text._Z30blocked_to_warp_striped_kernelIixLj64ELj1EEvPT_PT0_,"axG",@progbits,_Z30blocked_to_warp_striped_kernelIixLj64ELj1EEvPT_PT0_,comdat
.Lfunc_end52:
	.size	_Z30blocked_to_warp_striped_kernelIixLj64ELj1EEvPT_PT0_, .Lfunc_end52-_Z30blocked_to_warp_striped_kernelIixLj64ELj1EEvPT_PT0_
                                        ; -- End function
	.section	.AMDGPU.csdata,"",@progbits
; Kernel info:
; codeLenInByte = 132
; NumSgprs: 12
; NumVgprs: 4
; NumAgprs: 0
; TotalNumVgprs: 4
; ScratchSize: 0
; MemoryBound: 0
; FloatMode: 240
; IeeeMode: 1
; LDSByteSize: 256 bytes/workgroup (compile time only)
; SGPRBlocks: 1
; VGPRBlocks: 0
; NumSGPRsForWavesPerEU: 12
; NumVGPRsForWavesPerEU: 4
; AccumOffset: 4
; Occupancy: 8
; WaveLimiterHint : 0
; COMPUTE_PGM_RSRC2:SCRATCH_EN: 0
; COMPUTE_PGM_RSRC2:USER_SGPR: 6
; COMPUTE_PGM_RSRC2:TRAP_HANDLER: 0
; COMPUTE_PGM_RSRC2:TGID_X_EN: 1
; COMPUTE_PGM_RSRC2:TGID_Y_EN: 0
; COMPUTE_PGM_RSRC2:TGID_Z_EN: 0
; COMPUTE_PGM_RSRC2:TIDIG_COMP_CNT: 0
; COMPUTE_PGM_RSRC3_GFX90A:ACCUM_OFFSET: 0
; COMPUTE_PGM_RSRC3_GFX90A:TG_SPLIT: 0
	.section	.text._Z30blocked_to_warp_striped_kernelI6__halfS0_Lj512ELj4EEvPT_PT0_,"axG",@progbits,_Z30blocked_to_warp_striped_kernelI6__halfS0_Lj512ELj4EEvPT_PT0_,comdat
	.protected	_Z30blocked_to_warp_striped_kernelI6__halfS0_Lj512ELj4EEvPT_PT0_ ; -- Begin function _Z30blocked_to_warp_striped_kernelI6__halfS0_Lj512ELj4EEvPT_PT0_
	.globl	_Z30blocked_to_warp_striped_kernelI6__halfS0_Lj512ELj4EEvPT_PT0_
	.p2align	8
	.type	_Z30blocked_to_warp_striped_kernelI6__halfS0_Lj512ELj4EEvPT_PT0_,@function
_Z30blocked_to_warp_striped_kernelI6__halfS0_Lj512ELj4EEvPT_PT0_: ; @_Z30blocked_to_warp_striped_kernelI6__halfS0_Lj512ELj4EEvPT_PT0_
; %bb.0:
	s_load_dwordx4 s[0:3], s[4:5], 0x0
	s_lshl_b32 s4, s6, 9
	s_mov_b32 s5, 0
	s_lshl_b64 s[4:5], s[4:5], 1
	v_lshlrev_b32_e32 v4, 3, v0
	s_waitcnt lgkmcnt(0)
	s_add_u32 s0, s0, s4
	s_addc_u32 s1, s1, s5
	global_load_dwordx2 v[2:3], v4, s[0:1]
	v_mbcnt_lo_u32_b32 v1, -1, 0
	s_movk_i32 s0, 0x700
	v_lshlrev_b32_e32 v5, 2, v0
	v_mbcnt_hi_u32_b32 v1, -1, v1
	v_and_b32_e32 v0, 0x1c0, v0
	v_add_u32_e32 v0, v1, v0
	v_and_or_b32 v1, v5, s0, v1
	v_lshlrev_b32_e32 v5, 2, v0
	v_lshrrev_b32_e32 v0, 3, v0
	v_lshrrev_b32_e32 v6, 5, v1
	v_add_u32_e32 v7, 64, v1
	v_or_b32_e32 v8, 0x80, v1
	v_add_u32_e32 v9, 0xc0, v1
	v_and_b32_e32 v0, 0x7e, v0
	v_and_b32_e32 v6, 58, v6
	v_lshrrev_b32_e32 v10, 5, v7
	v_lshrrev_b32_e32 v11, 5, v8
	;; [unrolled: 1-line block ×3, first 2 shown]
	v_add_lshl_u32 v0, v0, v5, 1
	v_add_lshl_u32 v1, v6, v1, 1
	v_and_b32_e32 v5, 62, v10
	v_and_b32_e32 v6, 62, v11
	;; [unrolled: 1-line block ×3, first 2 shown]
	v_add_lshl_u32 v5, v5, v7, 1
	v_add_lshl_u32 v6, v6, v8, 1
	v_add_lshl_u32 v7, v10, v9, 1
	s_mov_b32 s6, 0x5040100
	s_add_u32 s0, s2, s4
	s_addc_u32 s1, s3, s5
	s_waitcnt vmcnt(0)
	ds_write_b64 v0, v[2:3]
	; wave barrier
	ds_read_u16 v0, v6
	ds_read_u16 v2, v7
	ds_read_u16 v3, v1
	ds_read_u16 v5, v5
	s_waitcnt lgkmcnt(2)
	v_perm_b32 v1, v2, v0, s6
	s_waitcnt lgkmcnt(0)
	v_perm_b32 v0, v5, v3, s6
	global_store_dwordx2 v4, v[0:1], s[0:1]
	s_endpgm
	.section	.rodata,"a",@progbits
	.p2align	6, 0x0
	.amdhsa_kernel _Z30blocked_to_warp_striped_kernelI6__halfS0_Lj512ELj4EEvPT_PT0_
		.amdhsa_group_segment_fixed_size 1056
		.amdhsa_private_segment_fixed_size 0
		.amdhsa_kernarg_size 16
		.amdhsa_user_sgpr_count 6
		.amdhsa_user_sgpr_private_segment_buffer 1
		.amdhsa_user_sgpr_dispatch_ptr 0
		.amdhsa_user_sgpr_queue_ptr 0
		.amdhsa_user_sgpr_kernarg_segment_ptr 1
		.amdhsa_user_sgpr_dispatch_id 0
		.amdhsa_user_sgpr_flat_scratch_init 0
		.amdhsa_user_sgpr_kernarg_preload_length 0
		.amdhsa_user_sgpr_kernarg_preload_offset 0
		.amdhsa_user_sgpr_private_segment_size 0
		.amdhsa_uses_dynamic_stack 0
		.amdhsa_system_sgpr_private_segment_wavefront_offset 0
		.amdhsa_system_sgpr_workgroup_id_x 1
		.amdhsa_system_sgpr_workgroup_id_y 0
		.amdhsa_system_sgpr_workgroup_id_z 0
		.amdhsa_system_sgpr_workgroup_info 0
		.amdhsa_system_vgpr_workitem_id 0
		.amdhsa_next_free_vgpr 13
		.amdhsa_next_free_sgpr 7
		.amdhsa_accum_offset 16
		.amdhsa_reserve_vcc 0
		.amdhsa_reserve_flat_scratch 0
		.amdhsa_float_round_mode_32 0
		.amdhsa_float_round_mode_16_64 0
		.amdhsa_float_denorm_mode_32 3
		.amdhsa_float_denorm_mode_16_64 3
		.amdhsa_dx10_clamp 1
		.amdhsa_ieee_mode 1
		.amdhsa_fp16_overflow 0
		.amdhsa_tg_split 0
		.amdhsa_exception_fp_ieee_invalid_op 0
		.amdhsa_exception_fp_denorm_src 0
		.amdhsa_exception_fp_ieee_div_zero 0
		.amdhsa_exception_fp_ieee_overflow 0
		.amdhsa_exception_fp_ieee_underflow 0
		.amdhsa_exception_fp_ieee_inexact 0
		.amdhsa_exception_int_div_zero 0
	.end_amdhsa_kernel
	.section	.text._Z30blocked_to_warp_striped_kernelI6__halfS0_Lj512ELj4EEvPT_PT0_,"axG",@progbits,_Z30blocked_to_warp_striped_kernelI6__halfS0_Lj512ELj4EEvPT_PT0_,comdat
.Lfunc_end53:
	.size	_Z30blocked_to_warp_striped_kernelI6__halfS0_Lj512ELj4EEvPT_PT0_, .Lfunc_end53-_Z30blocked_to_warp_striped_kernelI6__halfS0_Lj512ELj4EEvPT_PT0_
                                        ; -- End function
	.section	.AMDGPU.csdata,"",@progbits
; Kernel info:
; codeLenInByte = 296
; NumSgprs: 11
; NumVgprs: 13
; NumAgprs: 0
; TotalNumVgprs: 13
; ScratchSize: 0
; MemoryBound: 0
; FloatMode: 240
; IeeeMode: 1
; LDSByteSize: 1056 bytes/workgroup (compile time only)
; SGPRBlocks: 1
; VGPRBlocks: 1
; NumSGPRsForWavesPerEU: 11
; NumVGPRsForWavesPerEU: 13
; AccumOffset: 16
; Occupancy: 8
; WaveLimiterHint : 0
; COMPUTE_PGM_RSRC2:SCRATCH_EN: 0
; COMPUTE_PGM_RSRC2:USER_SGPR: 6
; COMPUTE_PGM_RSRC2:TRAP_HANDLER: 0
; COMPUTE_PGM_RSRC2:TGID_X_EN: 1
; COMPUTE_PGM_RSRC2:TGID_Y_EN: 0
; COMPUTE_PGM_RSRC2:TGID_Z_EN: 0
; COMPUTE_PGM_RSRC2:TIDIG_COMP_CNT: 0
; COMPUTE_PGM_RSRC3_GFX90A:ACCUM_OFFSET: 3
; COMPUTE_PGM_RSRC3_GFX90A:TG_SPLIT: 0
	.section	.text._Z30blocked_to_warp_striped_kernelI12hip_bfloat16S0_Lj512ELj4EEvPT_PT0_,"axG",@progbits,_Z30blocked_to_warp_striped_kernelI12hip_bfloat16S0_Lj512ELj4EEvPT_PT0_,comdat
	.protected	_Z30blocked_to_warp_striped_kernelI12hip_bfloat16S0_Lj512ELj4EEvPT_PT0_ ; -- Begin function _Z30blocked_to_warp_striped_kernelI12hip_bfloat16S0_Lj512ELj4EEvPT_PT0_
	.globl	_Z30blocked_to_warp_striped_kernelI12hip_bfloat16S0_Lj512ELj4EEvPT_PT0_
	.p2align	8
	.type	_Z30blocked_to_warp_striped_kernelI12hip_bfloat16S0_Lj512ELj4EEvPT_PT0_,@function
_Z30blocked_to_warp_striped_kernelI12hip_bfloat16S0_Lj512ELj4EEvPT_PT0_: ; @_Z30blocked_to_warp_striped_kernelI12hip_bfloat16S0_Lj512ELj4EEvPT_PT0_
; %bb.0:
	s_load_dwordx4 s[0:3], s[4:5], 0x0
	s_lshl_b32 s4, s6, 9
	s_mov_b32 s5, 0
	s_lshl_b64 s[4:5], s[4:5], 1
	v_lshlrev_b32_e32 v4, 3, v0
	s_waitcnt lgkmcnt(0)
	s_add_u32 s0, s0, s4
	s_addc_u32 s1, s1, s5
	global_load_dwordx2 v[2:3], v4, s[0:1]
	v_mbcnt_lo_u32_b32 v1, -1, 0
	s_movk_i32 s0, 0x700
	v_lshlrev_b32_e32 v5, 2, v0
	v_mbcnt_hi_u32_b32 v1, -1, v1
	v_and_b32_e32 v0, 0x1c0, v0
	v_add_u32_e32 v0, v1, v0
	v_and_or_b32 v1, v5, s0, v1
	v_lshlrev_b32_e32 v5, 2, v0
	v_lshrrev_b32_e32 v0, 3, v0
	v_lshrrev_b32_e32 v6, 5, v1
	v_add_u32_e32 v7, 64, v1
	v_or_b32_e32 v8, 0x80, v1
	v_add_u32_e32 v9, 0xc0, v1
	v_and_b32_e32 v0, 0x7e, v0
	v_and_b32_e32 v6, 58, v6
	v_lshrrev_b32_e32 v10, 5, v7
	v_lshrrev_b32_e32 v11, 5, v8
	v_lshrrev_b32_e32 v12, 5, v9
	v_add_lshl_u32 v0, v0, v5, 1
	v_add_lshl_u32 v1, v6, v1, 1
	v_and_b32_e32 v5, 62, v10
	v_and_b32_e32 v6, 62, v11
	;; [unrolled: 1-line block ×3, first 2 shown]
	v_add_lshl_u32 v5, v5, v7, 1
	v_add_lshl_u32 v6, v6, v8, 1
	;; [unrolled: 1-line block ×3, first 2 shown]
	s_mov_b32 s6, 0x5040100
	s_add_u32 s0, s2, s4
	s_addc_u32 s1, s3, s5
	s_waitcnt vmcnt(0)
	ds_write_b64 v0, v[2:3]
	; wave barrier
	ds_read_u16 v0, v6
	ds_read_u16 v2, v7
	;; [unrolled: 1-line block ×4, first 2 shown]
	s_waitcnt lgkmcnt(2)
	v_perm_b32 v1, v2, v0, s6
	s_waitcnt lgkmcnt(0)
	v_perm_b32 v0, v5, v3, s6
	global_store_dwordx2 v4, v[0:1], s[0:1]
	s_endpgm
	.section	.rodata,"a",@progbits
	.p2align	6, 0x0
	.amdhsa_kernel _Z30blocked_to_warp_striped_kernelI12hip_bfloat16S0_Lj512ELj4EEvPT_PT0_
		.amdhsa_group_segment_fixed_size 1056
		.amdhsa_private_segment_fixed_size 0
		.amdhsa_kernarg_size 16
		.amdhsa_user_sgpr_count 6
		.amdhsa_user_sgpr_private_segment_buffer 1
		.amdhsa_user_sgpr_dispatch_ptr 0
		.amdhsa_user_sgpr_queue_ptr 0
		.amdhsa_user_sgpr_kernarg_segment_ptr 1
		.amdhsa_user_sgpr_dispatch_id 0
		.amdhsa_user_sgpr_flat_scratch_init 0
		.amdhsa_user_sgpr_kernarg_preload_length 0
		.amdhsa_user_sgpr_kernarg_preload_offset 0
		.amdhsa_user_sgpr_private_segment_size 0
		.amdhsa_uses_dynamic_stack 0
		.amdhsa_system_sgpr_private_segment_wavefront_offset 0
		.amdhsa_system_sgpr_workgroup_id_x 1
		.amdhsa_system_sgpr_workgroup_id_y 0
		.amdhsa_system_sgpr_workgroup_id_z 0
		.amdhsa_system_sgpr_workgroup_info 0
		.amdhsa_system_vgpr_workitem_id 0
		.amdhsa_next_free_vgpr 13
		.amdhsa_next_free_sgpr 7
		.amdhsa_accum_offset 16
		.amdhsa_reserve_vcc 0
		.amdhsa_reserve_flat_scratch 0
		.amdhsa_float_round_mode_32 0
		.amdhsa_float_round_mode_16_64 0
		.amdhsa_float_denorm_mode_32 3
		.amdhsa_float_denorm_mode_16_64 3
		.amdhsa_dx10_clamp 1
		.amdhsa_ieee_mode 1
		.amdhsa_fp16_overflow 0
		.amdhsa_tg_split 0
		.amdhsa_exception_fp_ieee_invalid_op 0
		.amdhsa_exception_fp_denorm_src 0
		.amdhsa_exception_fp_ieee_div_zero 0
		.amdhsa_exception_fp_ieee_overflow 0
		.amdhsa_exception_fp_ieee_underflow 0
		.amdhsa_exception_fp_ieee_inexact 0
		.amdhsa_exception_int_div_zero 0
	.end_amdhsa_kernel
	.section	.text._Z30blocked_to_warp_striped_kernelI12hip_bfloat16S0_Lj512ELj4EEvPT_PT0_,"axG",@progbits,_Z30blocked_to_warp_striped_kernelI12hip_bfloat16S0_Lj512ELj4EEvPT_PT0_,comdat
.Lfunc_end54:
	.size	_Z30blocked_to_warp_striped_kernelI12hip_bfloat16S0_Lj512ELj4EEvPT_PT0_, .Lfunc_end54-_Z30blocked_to_warp_striped_kernelI12hip_bfloat16S0_Lj512ELj4EEvPT_PT0_
                                        ; -- End function
	.section	.AMDGPU.csdata,"",@progbits
; Kernel info:
; codeLenInByte = 296
; NumSgprs: 11
; NumVgprs: 13
; NumAgprs: 0
; TotalNumVgprs: 13
; ScratchSize: 0
; MemoryBound: 0
; FloatMode: 240
; IeeeMode: 1
; LDSByteSize: 1056 bytes/workgroup (compile time only)
; SGPRBlocks: 1
; VGPRBlocks: 1
; NumSGPRsForWavesPerEU: 11
; NumVGPRsForWavesPerEU: 13
; AccumOffset: 16
; Occupancy: 8
; WaveLimiterHint : 0
; COMPUTE_PGM_RSRC2:SCRATCH_EN: 0
; COMPUTE_PGM_RSRC2:USER_SGPR: 6
; COMPUTE_PGM_RSRC2:TRAP_HANDLER: 0
; COMPUTE_PGM_RSRC2:TGID_X_EN: 1
; COMPUTE_PGM_RSRC2:TGID_Y_EN: 0
; COMPUTE_PGM_RSRC2:TGID_Z_EN: 0
; COMPUTE_PGM_RSRC2:TIDIG_COMP_CNT: 0
; COMPUTE_PGM_RSRC3_GFX90A:ACCUM_OFFSET: 3
; COMPUTE_PGM_RSRC3_GFX90A:TG_SPLIT: 0
	.section	.text._Z30blocked_to_warp_striped_kernelIfdLj512ELj4EEvPT_PT0_,"axG",@progbits,_Z30blocked_to_warp_striped_kernelIfdLj512ELj4EEvPT_PT0_,comdat
	.protected	_Z30blocked_to_warp_striped_kernelIfdLj512ELj4EEvPT_PT0_ ; -- Begin function _Z30blocked_to_warp_striped_kernelIfdLj512ELj4EEvPT_PT0_
	.globl	_Z30blocked_to_warp_striped_kernelIfdLj512ELj4EEvPT_PT0_
	.p2align	8
	.type	_Z30blocked_to_warp_striped_kernelIfdLj512ELj4EEvPT_PT0_,@function
_Z30blocked_to_warp_striped_kernelIfdLj512ELj4EEvPT_PT0_: ; @_Z30blocked_to_warp_striped_kernelIfdLj512ELj4EEvPT_PT0_
; %bb.0:
	s_load_dwordx4 s[0:3], s[4:5], 0x0
	s_lshl_b32 s4, s6, 9
	s_mov_b32 s5, 0
	s_lshl_b64 s[6:7], s[4:5], 2
	v_lshlrev_b32_e32 v1, 4, v0
	s_waitcnt lgkmcnt(0)
	s_add_u32 s0, s0, s6
	s_addc_u32 s1, s1, s7
	global_load_dwordx4 v[2:5], v1, s[0:1]
	v_mbcnt_lo_u32_b32 v1, -1, 0
	s_movk_i32 s0, 0x700
	v_lshlrev_b32_e32 v6, 2, v0
	v_mbcnt_hi_u32_b32 v1, -1, v1
	v_and_b32_e32 v7, 0x1c0, v0
	v_lshlrev_b32_e32 v8, 5, v0
	v_add_u32_e32 v0, v1, v7
	v_and_or_b32 v1, v6, s0, v1
	v_lshlrev_b32_e32 v6, 2, v0
	v_bfe_u32 v0, v0, 3, 27
	v_add_u32_e32 v9, 64, v1
	v_lshrrev_b32_e32 v7, 5, v1
	v_or_b32_e32 v10, 0x80, v1
	v_add_u32_e32 v11, 0xc0, v1
	v_add_lshl_u32 v0, v0, v6, 2
	v_lshrrev_b32_e32 v6, 5, v9
	v_add_lshl_u32 v1, v7, v1, 2
	v_lshrrev_b32_e32 v7, 5, v10
	v_lshrrev_b32_e32 v12, 5, v11
	v_add_lshl_u32 v6, v6, v9, 2
	v_add_lshl_u32 v7, v7, v10, 2
	;; [unrolled: 1-line block ×3, first 2 shown]
	s_lshl_b64 s[0:1], s[4:5], 3
	s_add_u32 s0, s2, s0
	s_addc_u32 s1, s3, s1
	s_waitcnt vmcnt(0)
	ds_write2_b32 v0, v2, v3 offset1:1
	ds_write2_b32 v0, v4, v5 offset0:2 offset1:3
	; wave barrier
	ds_read_b32 v0, v1
	ds_read_b32 v2, v6
	;; [unrolled: 1-line block ×4, first 2 shown]
	s_waitcnt lgkmcnt(3)
	v_cvt_f64_f32_e32 v[0:1], v0
	s_waitcnt lgkmcnt(2)
	v_cvt_f64_f32_e32 v[2:3], v2
	;; [unrolled: 2-line block ×4, first 2 shown]
	global_store_dwordx4 v8, v[0:3], s[0:1]
	global_store_dwordx4 v8, v[4:7], s[0:1] offset:16
	s_endpgm
	.section	.rodata,"a",@progbits
	.p2align	6, 0x0
	.amdhsa_kernel _Z30blocked_to_warp_striped_kernelIfdLj512ELj4EEvPT_PT0_
		.amdhsa_group_segment_fixed_size 2112
		.amdhsa_private_segment_fixed_size 0
		.amdhsa_kernarg_size 16
		.amdhsa_user_sgpr_count 6
		.amdhsa_user_sgpr_private_segment_buffer 1
		.amdhsa_user_sgpr_dispatch_ptr 0
		.amdhsa_user_sgpr_queue_ptr 0
		.amdhsa_user_sgpr_kernarg_segment_ptr 1
		.amdhsa_user_sgpr_dispatch_id 0
		.amdhsa_user_sgpr_flat_scratch_init 0
		.amdhsa_user_sgpr_kernarg_preload_length 0
		.amdhsa_user_sgpr_kernarg_preload_offset 0
		.amdhsa_user_sgpr_private_segment_size 0
		.amdhsa_uses_dynamic_stack 0
		.amdhsa_system_sgpr_private_segment_wavefront_offset 0
		.amdhsa_system_sgpr_workgroup_id_x 1
		.amdhsa_system_sgpr_workgroup_id_y 0
		.amdhsa_system_sgpr_workgroup_id_z 0
		.amdhsa_system_sgpr_workgroup_info 0
		.amdhsa_system_vgpr_workitem_id 0
		.amdhsa_next_free_vgpr 13
		.amdhsa_next_free_sgpr 8
		.amdhsa_accum_offset 16
		.amdhsa_reserve_vcc 0
		.amdhsa_reserve_flat_scratch 0
		.amdhsa_float_round_mode_32 0
		.amdhsa_float_round_mode_16_64 0
		.amdhsa_float_denorm_mode_32 3
		.amdhsa_float_denorm_mode_16_64 3
		.amdhsa_dx10_clamp 1
		.amdhsa_ieee_mode 1
		.amdhsa_fp16_overflow 0
		.amdhsa_tg_split 0
		.amdhsa_exception_fp_ieee_invalid_op 0
		.amdhsa_exception_fp_denorm_src 0
		.amdhsa_exception_fp_ieee_div_zero 0
		.amdhsa_exception_fp_ieee_overflow 0
		.amdhsa_exception_fp_ieee_underflow 0
		.amdhsa_exception_fp_ieee_inexact 0
		.amdhsa_exception_int_div_zero 0
	.end_amdhsa_kernel
	.section	.text._Z30blocked_to_warp_striped_kernelIfdLj512ELj4EEvPT_PT0_,"axG",@progbits,_Z30blocked_to_warp_striped_kernelIfdLj512ELj4EEvPT_PT0_,comdat
.Lfunc_end55:
	.size	_Z30blocked_to_warp_striped_kernelIfdLj512ELj4EEvPT_PT0_, .Lfunc_end55-_Z30blocked_to_warp_striped_kernelIfdLj512ELj4EEvPT_PT0_
                                        ; -- End function
	.section	.AMDGPU.csdata,"",@progbits
; Kernel info:
; codeLenInByte = 296
; NumSgprs: 12
; NumVgprs: 13
; NumAgprs: 0
; TotalNumVgprs: 13
; ScratchSize: 0
; MemoryBound: 0
; FloatMode: 240
; IeeeMode: 1
; LDSByteSize: 2112 bytes/workgroup (compile time only)
; SGPRBlocks: 1
; VGPRBlocks: 1
; NumSGPRsForWavesPerEU: 12
; NumVGPRsForWavesPerEU: 13
; AccumOffset: 16
; Occupancy: 8
; WaveLimiterHint : 0
; COMPUTE_PGM_RSRC2:SCRATCH_EN: 0
; COMPUTE_PGM_RSRC2:USER_SGPR: 6
; COMPUTE_PGM_RSRC2:TRAP_HANDLER: 0
; COMPUTE_PGM_RSRC2:TGID_X_EN: 1
; COMPUTE_PGM_RSRC2:TGID_Y_EN: 0
; COMPUTE_PGM_RSRC2:TGID_Z_EN: 0
; COMPUTE_PGM_RSRC2:TIDIG_COMP_CNT: 0
; COMPUTE_PGM_RSRC3_GFX90A:ACCUM_OFFSET: 3
; COMPUTE_PGM_RSRC3_GFX90A:TG_SPLIT: 0
	.section	.text._Z30blocked_to_warp_striped_kernelIiiLj512ELj4EEvPT_PT0_,"axG",@progbits,_Z30blocked_to_warp_striped_kernelIiiLj512ELj4EEvPT_PT0_,comdat
	.protected	_Z30blocked_to_warp_striped_kernelIiiLj512ELj4EEvPT_PT0_ ; -- Begin function _Z30blocked_to_warp_striped_kernelIiiLj512ELj4EEvPT_PT0_
	.globl	_Z30blocked_to_warp_striped_kernelIiiLj512ELj4EEvPT_PT0_
	.p2align	8
	.type	_Z30blocked_to_warp_striped_kernelIiiLj512ELj4EEvPT_PT0_,@function
_Z30blocked_to_warp_striped_kernelIiiLj512ELj4EEvPT_PT0_: ; @_Z30blocked_to_warp_striped_kernelIiiLj512ELj4EEvPT_PT0_
; %bb.0:
	s_load_dwordx4 s[0:3], s[4:5], 0x0
	s_lshl_b32 s4, s6, 9
	s_mov_b32 s5, 0
	s_lshl_b64 s[4:5], s[4:5], 2
	v_lshlrev_b32_e32 v6, 4, v0
	s_waitcnt lgkmcnt(0)
	s_add_u32 s0, s0, s4
	s_addc_u32 s1, s1, s5
	global_load_dwordx4 v[2:5], v6, s[0:1]
	v_mbcnt_lo_u32_b32 v1, -1, 0
	s_movk_i32 s0, 0x700
	v_lshlrev_b32_e32 v7, 2, v0
	v_mbcnt_hi_u32_b32 v1, -1, v1
	v_and_b32_e32 v0, 0x1c0, v0
	v_add_u32_e32 v0, v1, v0
	v_and_or_b32 v1, v7, s0, v1
	v_lshlrev_b32_e32 v7, 2, v0
	v_bfe_u32 v0, v0, 3, 27
	v_lshrrev_b32_e32 v8, 5, v1
	v_add_u32_e32 v9, 64, v1
	v_or_b32_e32 v10, 0x80, v1
	v_add_u32_e32 v11, 0xc0, v1
	v_add_lshl_u32 v0, v0, v7, 2
	v_add_lshl_u32 v1, v8, v1, 2
	v_lshrrev_b32_e32 v7, 5, v9
	v_lshrrev_b32_e32 v8, 5, v10
	;; [unrolled: 1-line block ×3, first 2 shown]
	v_add_lshl_u32 v7, v7, v9, 2
	v_add_lshl_u32 v8, v8, v10, 2
	;; [unrolled: 1-line block ×3, first 2 shown]
	s_add_u32 s0, s2, s4
	s_addc_u32 s1, s3, s5
	s_waitcnt vmcnt(0)
	ds_write2_b32 v0, v2, v3 offset1:1
	ds_write2_b32 v0, v4, v5 offset0:2 offset1:3
	; wave barrier
	ds_read_b32 v0, v1
	ds_read_b32 v1, v7
	;; [unrolled: 1-line block ×4, first 2 shown]
	s_waitcnt lgkmcnt(0)
	global_store_dwordx4 v6, v[0:3], s[0:1]
	s_endpgm
	.section	.rodata,"a",@progbits
	.p2align	6, 0x0
	.amdhsa_kernel _Z30blocked_to_warp_striped_kernelIiiLj512ELj4EEvPT_PT0_
		.amdhsa_group_segment_fixed_size 2112
		.amdhsa_private_segment_fixed_size 0
		.amdhsa_kernarg_size 16
		.amdhsa_user_sgpr_count 6
		.amdhsa_user_sgpr_private_segment_buffer 1
		.amdhsa_user_sgpr_dispatch_ptr 0
		.amdhsa_user_sgpr_queue_ptr 0
		.amdhsa_user_sgpr_kernarg_segment_ptr 1
		.amdhsa_user_sgpr_dispatch_id 0
		.amdhsa_user_sgpr_flat_scratch_init 0
		.amdhsa_user_sgpr_kernarg_preload_length 0
		.amdhsa_user_sgpr_kernarg_preload_offset 0
		.amdhsa_user_sgpr_private_segment_size 0
		.amdhsa_uses_dynamic_stack 0
		.amdhsa_system_sgpr_private_segment_wavefront_offset 0
		.amdhsa_system_sgpr_workgroup_id_x 1
		.amdhsa_system_sgpr_workgroup_id_y 0
		.amdhsa_system_sgpr_workgroup_id_z 0
		.amdhsa_system_sgpr_workgroup_info 0
		.amdhsa_system_vgpr_workitem_id 0
		.amdhsa_next_free_vgpr 13
		.amdhsa_next_free_sgpr 7
		.amdhsa_accum_offset 16
		.amdhsa_reserve_vcc 0
		.amdhsa_reserve_flat_scratch 0
		.amdhsa_float_round_mode_32 0
		.amdhsa_float_round_mode_16_64 0
		.amdhsa_float_denorm_mode_32 3
		.amdhsa_float_denorm_mode_16_64 3
		.amdhsa_dx10_clamp 1
		.amdhsa_ieee_mode 1
		.amdhsa_fp16_overflow 0
		.amdhsa_tg_split 0
		.amdhsa_exception_fp_ieee_invalid_op 0
		.amdhsa_exception_fp_denorm_src 0
		.amdhsa_exception_fp_ieee_div_zero 0
		.amdhsa_exception_fp_ieee_overflow 0
		.amdhsa_exception_fp_ieee_underflow 0
		.amdhsa_exception_fp_ieee_inexact 0
		.amdhsa_exception_int_div_zero 0
	.end_amdhsa_kernel
	.section	.text._Z30blocked_to_warp_striped_kernelIiiLj512ELj4EEvPT_PT0_,"axG",@progbits,_Z30blocked_to_warp_striped_kernelIiiLj512ELj4EEvPT_PT0_,comdat
.Lfunc_end56:
	.size	_Z30blocked_to_warp_striped_kernelIiiLj512ELj4EEvPT_PT0_, .Lfunc_end56-_Z30blocked_to_warp_striped_kernelIiiLj512ELj4EEvPT_PT0_
                                        ; -- End function
	.section	.AMDGPU.csdata,"",@progbits
; Kernel info:
; codeLenInByte = 252
; NumSgprs: 11
; NumVgprs: 13
; NumAgprs: 0
; TotalNumVgprs: 13
; ScratchSize: 0
; MemoryBound: 0
; FloatMode: 240
; IeeeMode: 1
; LDSByteSize: 2112 bytes/workgroup (compile time only)
; SGPRBlocks: 1
; VGPRBlocks: 1
; NumSGPRsForWavesPerEU: 11
; NumVGPRsForWavesPerEU: 13
; AccumOffset: 16
; Occupancy: 8
; WaveLimiterHint : 0
; COMPUTE_PGM_RSRC2:SCRATCH_EN: 0
; COMPUTE_PGM_RSRC2:USER_SGPR: 6
; COMPUTE_PGM_RSRC2:TRAP_HANDLER: 0
; COMPUTE_PGM_RSRC2:TGID_X_EN: 1
; COMPUTE_PGM_RSRC2:TGID_Y_EN: 0
; COMPUTE_PGM_RSRC2:TGID_Z_EN: 0
; COMPUTE_PGM_RSRC2:TIDIG_COMP_CNT: 0
; COMPUTE_PGM_RSRC3_GFX90A:ACCUM_OFFSET: 3
; COMPUTE_PGM_RSRC3_GFX90A:TG_SPLIT: 0
	.section	.text._Z30warp_striped_to_blocked_kernelIsiLj2106ELj9EEvPT_PT0_,"axG",@progbits,_Z30warp_striped_to_blocked_kernelIsiLj2106ELj9EEvPT_PT0_,comdat
	.protected	_Z30warp_striped_to_blocked_kernelIsiLj2106ELj9EEvPT_PT0_ ; -- Begin function _Z30warp_striped_to_blocked_kernelIsiLj2106ELj9EEvPT_PT0_
	.globl	_Z30warp_striped_to_blocked_kernelIsiLj2106ELj9EEvPT_PT0_
	.p2align	8
	.type	_Z30warp_striped_to_blocked_kernelIsiLj2106ELj9EEvPT_PT0_,@function
_Z30warp_striped_to_blocked_kernelIsiLj2106ELj9EEvPT_PT0_: ; @_Z30warp_striped_to_blocked_kernelIsiLj2106ELj9EEvPT_PT0_
; %bb.0:
	s_load_dwordx4 s[0:3], s[4:5], 0x0
	s_mul_i32 s4, s6, 0x83a
	s_mov_b32 s5, 0
	s_lshl_b64 s[6:7], s[4:5], 1
	v_mul_u32_u24_e32 v1, 9, v0
	s_waitcnt lgkmcnt(0)
	s_add_u32 s0, s0, s6
	s_addc_u32 s1, s1, s7
	v_lshlrev_b32_e32 v6, 1, v1
	global_load_dwordx4 v[2:5], v6, s[0:1]
	global_load_ushort v7, v6, s[0:1] offset:16
	s_movk_i32 s0, 0xc0
	v_lshrrev_b32_e32 v10, 6, v0
	v_and_b32_e32 v0, 0x1c0, v0
	v_mbcnt_lo_u32_b32 v6, -1, 0
	v_mov_b32_e32 v8, 0x80
	v_mov_b32_e32 v9, 0x54
	v_cmp_eq_u32_e32 vcc, s0, v0
	v_mbcnt_hi_u32_b32 v6, -1, v6
	v_cndmask_b32_e32 v0, v8, v9, vcc
	v_mul_u32_u24_e32 v8, 0x240, v10
	v_lshlrev_b32_e32 v9, 2, v1
	v_add_lshl_u32 v1, v6, v8, 1
	v_add_u32_e32 v8, v1, v0
	v_add_u32_e32 v10, v8, v0
	;; [unrolled: 1-line block ×7, first 2 shown]
	v_lshl_add_u32 v6, v6, 4, v1
	v_add_u32_e32 v0, v15, v0
	s_lshl_b64 s[0:1], s[4:5], 2
	s_add_u32 s0, s2, s0
	s_addc_u32 s1, s3, s1
	s_waitcnt vmcnt(1)
	ds_write_b16 v1, v2
	ds_write_b16_d16_hi v8, v2
	ds_write_b16 v10, v3
	ds_write_b16_d16_hi v11, v3
	;; [unrolled: 2-line block ×4, first 2 shown]
	s_waitcnt vmcnt(0)
	ds_write_b16 v0, v7
	; wave barrier
	ds_read_b128 v[0:3], v6
	ds_read_i16 v8, v6 offset:16
	s_waitcnt lgkmcnt(1)
	v_bfe_i32 v4, v0, 0, 16
	v_ashrrev_i32_e32 v5, 16, v0
	v_bfe_i32 v6, v1, 0, 16
	v_ashrrev_i32_e32 v7, 16, v1
	;; [unrolled: 2-line block ×4, first 2 shown]
	global_store_dwordx4 v9, v[4:7], s[0:1]
	global_store_dwordx4 v9, v[0:3], s[0:1] offset:16
	s_waitcnt lgkmcnt(0)
	global_store_dword v9, v8, s[0:1] offset:32
	s_endpgm
	.section	.rodata,"a",@progbits
	.p2align	6, 0x0
	.amdhsa_kernel _Z30warp_striped_to_blocked_kernelIsiLj2106ELj9EEvPT_PT0_
		.amdhsa_group_segment_fixed_size 4224
		.amdhsa_private_segment_fixed_size 0
		.amdhsa_kernarg_size 16
		.amdhsa_user_sgpr_count 6
		.amdhsa_user_sgpr_private_segment_buffer 1
		.amdhsa_user_sgpr_dispatch_ptr 0
		.amdhsa_user_sgpr_queue_ptr 0
		.amdhsa_user_sgpr_kernarg_segment_ptr 1
		.amdhsa_user_sgpr_dispatch_id 0
		.amdhsa_user_sgpr_flat_scratch_init 0
		.amdhsa_user_sgpr_kernarg_preload_length 0
		.amdhsa_user_sgpr_kernarg_preload_offset 0
		.amdhsa_user_sgpr_private_segment_size 0
		.amdhsa_uses_dynamic_stack 0
		.amdhsa_system_sgpr_private_segment_wavefront_offset 0
		.amdhsa_system_sgpr_workgroup_id_x 1
		.amdhsa_system_sgpr_workgroup_id_y 0
		.amdhsa_system_sgpr_workgroup_id_z 0
		.amdhsa_system_sgpr_workgroup_info 0
		.amdhsa_system_vgpr_workitem_id 0
		.amdhsa_next_free_vgpr 16
		.amdhsa_next_free_sgpr 8
		.amdhsa_accum_offset 16
		.amdhsa_reserve_vcc 1
		.amdhsa_reserve_flat_scratch 0
		.amdhsa_float_round_mode_32 0
		.amdhsa_float_round_mode_16_64 0
		.amdhsa_float_denorm_mode_32 3
		.amdhsa_float_denorm_mode_16_64 3
		.amdhsa_dx10_clamp 1
		.amdhsa_ieee_mode 1
		.amdhsa_fp16_overflow 0
		.amdhsa_tg_split 0
		.amdhsa_exception_fp_ieee_invalid_op 0
		.amdhsa_exception_fp_denorm_src 0
		.amdhsa_exception_fp_ieee_div_zero 0
		.amdhsa_exception_fp_ieee_overflow 0
		.amdhsa_exception_fp_ieee_underflow 0
		.amdhsa_exception_fp_ieee_inexact 0
		.amdhsa_exception_int_div_zero 0
	.end_amdhsa_kernel
	.section	.text._Z30warp_striped_to_blocked_kernelIsiLj2106ELj9EEvPT_PT0_,"axG",@progbits,_Z30warp_striped_to_blocked_kernelIsiLj2106ELj9EEvPT_PT0_,comdat
.Lfunc_end57:
	.size	_Z30warp_striped_to_blocked_kernelIsiLj2106ELj9EEvPT_PT0_, .Lfunc_end57-_Z30warp_striped_to_blocked_kernelIsiLj2106ELj9EEvPT_PT0_
                                        ; -- End function
	.section	.AMDGPU.csdata,"",@progbits
; Kernel info:
; codeLenInByte = 368
; NumSgprs: 12
; NumVgprs: 16
; NumAgprs: 0
; TotalNumVgprs: 16
; ScratchSize: 0
; MemoryBound: 0
; FloatMode: 240
; IeeeMode: 1
; LDSByteSize: 4224 bytes/workgroup (compile time only)
; SGPRBlocks: 1
; VGPRBlocks: 1
; NumSGPRsForWavesPerEU: 12
; NumVGPRsForWavesPerEU: 16
; AccumOffset: 16
; Occupancy: 8
; WaveLimiterHint : 0
; COMPUTE_PGM_RSRC2:SCRATCH_EN: 0
; COMPUTE_PGM_RSRC2:USER_SGPR: 6
; COMPUTE_PGM_RSRC2:TRAP_HANDLER: 0
; COMPUTE_PGM_RSRC2:TGID_X_EN: 1
; COMPUTE_PGM_RSRC2:TGID_Y_EN: 0
; COMPUTE_PGM_RSRC2:TGID_Z_EN: 0
; COMPUTE_PGM_RSRC2:TIDIG_COMP_CNT: 0
; COMPUTE_PGM_RSRC3_GFX90A:ACCUM_OFFSET: 3
; COMPUTE_PGM_RSRC3_GFX90A:TG_SPLIT: 0
	.section	.text._Z30warp_striped_to_blocked_kernelItjLj300ELj3EEvPT_PT0_,"axG",@progbits,_Z30warp_striped_to_blocked_kernelItjLj300ELj3EEvPT_PT0_,comdat
	.protected	_Z30warp_striped_to_blocked_kernelItjLj300ELj3EEvPT_PT0_ ; -- Begin function _Z30warp_striped_to_blocked_kernelItjLj300ELj3EEvPT_PT0_
	.globl	_Z30warp_striped_to_blocked_kernelItjLj300ELj3EEvPT_PT0_
	.p2align	8
	.type	_Z30warp_striped_to_blocked_kernelItjLj300ELj3EEvPT_PT0_,@function
_Z30warp_striped_to_blocked_kernelItjLj300ELj3EEvPT_PT0_: ; @_Z30warp_striped_to_blocked_kernelItjLj300ELj3EEvPT_PT0_
; %bb.0:
	s_load_dwordx4 s[0:3], s[4:5], 0x0
	s_mul_i32 s4, s6, 0x12c
	s_mov_b32 s5, 0
	s_lshl_b64 s[6:7], s[4:5], 1
	v_mul_u32_u24_e32 v3, 3, v0
	s_waitcnt lgkmcnt(0)
	s_add_u32 s0, s0, s6
	s_addc_u32 s1, s1, s7
	v_lshlrev_b32_e32 v1, 1, v3
	global_load_dword v2, v1, s[0:1]
	global_load_ushort v4, v1, s[0:1] offset:4
	v_lshrrev_b32_e32 v7, 6, v0
	v_and_b32_e32 v0, 0x1c0, v0
	v_mbcnt_lo_u32_b32 v1, -1, 0
	v_mov_b32_e32 v5, 0x80
	v_mov_b32_e32 v6, 0x48
	v_cmp_eq_u32_e32 vcc, 64, v0
	v_mbcnt_hi_u32_b32 v1, -1, v1
	v_cndmask_b32_e32 v0, v5, v6, vcc
	v_mul_u32_u24_e32 v5, 0xc0, v7
	v_add_lshl_u32 v5, v1, v5, 1
	v_add_u32_e32 v6, v5, v0
	v_lshl_add_u32 v7, v1, 2, v5
	v_add_u32_e32 v0, v6, v0
	s_lshl_b64 s[0:1], s[4:5], 2
	s_add_u32 s0, s2, s0
	s_addc_u32 s1, s3, s1
	v_lshlrev_b32_e32 v3, 2, v3
	s_waitcnt vmcnt(1)
	ds_write_b16 v5, v2
	ds_write_b16_d16_hi v6, v2
	s_waitcnt vmcnt(0)
	ds_write_b16 v0, v4
	; wave barrier
	ds_read_u16 v0, v7
	ds_read_u16 v1, v7 offset:2
	ds_read_u16 v2, v7 offset:4
	s_waitcnt lgkmcnt(0)
	global_store_dwordx3 v3, v[0:2], s[0:1]
	s_endpgm
	.section	.rodata,"a",@progbits
	.p2align	6, 0x0
	.amdhsa_kernel _Z30warp_striped_to_blocked_kernelItjLj300ELj3EEvPT_PT0_
		.amdhsa_group_segment_fixed_size 608
		.amdhsa_private_segment_fixed_size 0
		.amdhsa_kernarg_size 16
		.amdhsa_user_sgpr_count 6
		.amdhsa_user_sgpr_private_segment_buffer 1
		.amdhsa_user_sgpr_dispatch_ptr 0
		.amdhsa_user_sgpr_queue_ptr 0
		.amdhsa_user_sgpr_kernarg_segment_ptr 1
		.amdhsa_user_sgpr_dispatch_id 0
		.amdhsa_user_sgpr_flat_scratch_init 0
		.amdhsa_user_sgpr_kernarg_preload_length 0
		.amdhsa_user_sgpr_kernarg_preload_offset 0
		.amdhsa_user_sgpr_private_segment_size 0
		.amdhsa_uses_dynamic_stack 0
		.amdhsa_system_sgpr_private_segment_wavefront_offset 0
		.amdhsa_system_sgpr_workgroup_id_x 1
		.amdhsa_system_sgpr_workgroup_id_y 0
		.amdhsa_system_sgpr_workgroup_id_z 0
		.amdhsa_system_sgpr_workgroup_info 0
		.amdhsa_system_vgpr_workitem_id 0
		.amdhsa_next_free_vgpr 8
		.amdhsa_next_free_sgpr 8
		.amdhsa_accum_offset 8
		.amdhsa_reserve_vcc 1
		.amdhsa_reserve_flat_scratch 0
		.amdhsa_float_round_mode_32 0
		.amdhsa_float_round_mode_16_64 0
		.amdhsa_float_denorm_mode_32 3
		.amdhsa_float_denorm_mode_16_64 3
		.amdhsa_dx10_clamp 1
		.amdhsa_ieee_mode 1
		.amdhsa_fp16_overflow 0
		.amdhsa_tg_split 0
		.amdhsa_exception_fp_ieee_invalid_op 0
		.amdhsa_exception_fp_denorm_src 0
		.amdhsa_exception_fp_ieee_div_zero 0
		.amdhsa_exception_fp_ieee_overflow 0
		.amdhsa_exception_fp_ieee_underflow 0
		.amdhsa_exception_fp_ieee_inexact 0
		.amdhsa_exception_int_div_zero 0
	.end_amdhsa_kernel
	.section	.text._Z30warp_striped_to_blocked_kernelItjLj300ELj3EEvPT_PT0_,"axG",@progbits,_Z30warp_striped_to_blocked_kernelItjLj300ELj3EEvPT_PT0_,comdat
.Lfunc_end58:
	.size	_Z30warp_striped_to_blocked_kernelItjLj300ELj3EEvPT_PT0_, .Lfunc_end58-_Z30warp_striped_to_blocked_kernelItjLj300ELj3EEvPT_PT0_
                                        ; -- End function
	.section	.AMDGPU.csdata,"",@progbits
; Kernel info:
; codeLenInByte = 232
; NumSgprs: 12
; NumVgprs: 8
; NumAgprs: 0
; TotalNumVgprs: 8
; ScratchSize: 0
; MemoryBound: 0
; FloatMode: 240
; IeeeMode: 1
; LDSByteSize: 608 bytes/workgroup (compile time only)
; SGPRBlocks: 1
; VGPRBlocks: 0
; NumSGPRsForWavesPerEU: 12
; NumVGPRsForWavesPerEU: 8
; AccumOffset: 8
; Occupancy: 8
; WaveLimiterHint : 0
; COMPUTE_PGM_RSRC2:SCRATCH_EN: 0
; COMPUTE_PGM_RSRC2:USER_SGPR: 6
; COMPUTE_PGM_RSRC2:TRAP_HANDLER: 0
; COMPUTE_PGM_RSRC2:TGID_X_EN: 1
; COMPUTE_PGM_RSRC2:TGID_Y_EN: 0
; COMPUTE_PGM_RSRC2:TGID_Z_EN: 0
; COMPUTE_PGM_RSRC2:TIDIG_COMP_CNT: 0
; COMPUTE_PGM_RSRC3_GFX90A:ACCUM_OFFSET: 1
; COMPUTE_PGM_RSRC3_GFX90A:TG_SPLIT: 0
	.section	.text._Z30warp_striped_to_blocked_kernelIc5dummyIdELj928ELj2EEvPT_PT0_,"axG",@progbits,_Z30warp_striped_to_blocked_kernelIc5dummyIdELj928ELj2EEvPT_PT0_,comdat
	.protected	_Z30warp_striped_to_blocked_kernelIc5dummyIdELj928ELj2EEvPT_PT0_ ; -- Begin function _Z30warp_striped_to_blocked_kernelIc5dummyIdELj928ELj2EEvPT_PT0_
	.globl	_Z30warp_striped_to_blocked_kernelIc5dummyIdELj928ELj2EEvPT_PT0_
	.p2align	8
	.type	_Z30warp_striped_to_blocked_kernelIc5dummyIdELj928ELj2EEvPT_PT0_,@function
_Z30warp_striped_to_blocked_kernelIc5dummyIdELj928ELj2EEvPT_PT0_: ; @_Z30warp_striped_to_blocked_kernelIc5dummyIdELj928ELj2EEvPT_PT0_
; %bb.0:
	s_load_dwordx4 s[0:3], s[4:5], 0x0
	s_mul_i32 s4, s6, 0x3a0
	v_lshlrev_b32_e32 v1, 1, v0
	v_mbcnt_lo_u32_b32 v3, -1, 0
	v_and_b32_e32 v4, 0x1c0, v0
	s_waitcnt lgkmcnt(0)
	s_add_u32 s0, s0, s4
	s_addc_u32 s1, s1, 0
	global_load_ushort v2, v1, s[0:1]
	s_movk_i32 s0, 0x1c0
	v_mbcnt_hi_u32_b32 v3, -1, v3
	v_lshlrev_b32_e32 v8, 5, v0
	v_and_b32_e32 v0, 0x380, v1
	v_cmp_eq_u32_e32 vcc, s0, v4
	v_cndmask_b32_e64 v1, 64, 16, vcc
	v_add_u32_e32 v4, v3, v4
	v_or_b32_e32 v3, v3, v0
	v_lshrrev_b32_e32 v0, 5, v0
	v_lshrrev_b32_e32 v5, 4, v4
	v_add_u32_e32 v1, v3, v1
	v_add_u32_e32 v0, v0, v3
	v_and_b32_e32 v3, 60, v5
	v_lshrrev_b32_e32 v5, 5, v1
	v_lshl_add_u32 v3, v4, 1, v3
	v_and_b32_e32 v4, 60, v5
	v_add_u32_e32 v1, v4, v1
	s_mov_b32 s5, 0
	s_lshl_b64 s[0:1], s[4:5], 4
	s_add_u32 s0, s2, s0
	s_addc_u32 s1, s3, s1
	s_waitcnt vmcnt(0)
	v_lshrrev_b16_e32 v4, 8, v2
	ds_write_b8 v0, v2
	ds_write_b8 v1, v4
	; wave barrier
	ds_read_i8 v0, v3
	ds_read_i8 v1, v3 offset:1
	s_waitcnt lgkmcnt(1)
	v_add_u32_e32 v2, 1, v0
	v_lshlrev_b32_e32 v3, 1, v0
	s_waitcnt lgkmcnt(0)
	v_add_u32_e32 v4, 1, v1
	v_lshlrev_b32_e32 v6, 1, v1
	v_cvt_f64_i32_e32 v[0:1], v2
	v_cvt_f64_i32_e32 v[2:3], v3
	;; [unrolled: 1-line block ×4, first 2 shown]
	global_store_dwordx4 v8, v[0:3], s[0:1]
	global_store_dwordx4 v8, v[4:7], s[0:1] offset:16
	s_endpgm
	.section	.rodata,"a",@progbits
	.p2align	6, 0x0
	.amdhsa_kernel _Z30warp_striped_to_blocked_kernelIc5dummyIdELj928ELj2EEvPT_PT0_
		.amdhsa_group_segment_fixed_size 960
		.amdhsa_private_segment_fixed_size 0
		.amdhsa_kernarg_size 16
		.amdhsa_user_sgpr_count 6
		.amdhsa_user_sgpr_private_segment_buffer 1
		.amdhsa_user_sgpr_dispatch_ptr 0
		.amdhsa_user_sgpr_queue_ptr 0
		.amdhsa_user_sgpr_kernarg_segment_ptr 1
		.amdhsa_user_sgpr_dispatch_id 0
		.amdhsa_user_sgpr_flat_scratch_init 0
		.amdhsa_user_sgpr_kernarg_preload_length 0
		.amdhsa_user_sgpr_kernarg_preload_offset 0
		.amdhsa_user_sgpr_private_segment_size 0
		.amdhsa_uses_dynamic_stack 0
		.amdhsa_system_sgpr_private_segment_wavefront_offset 0
		.amdhsa_system_sgpr_workgroup_id_x 1
		.amdhsa_system_sgpr_workgroup_id_y 0
		.amdhsa_system_sgpr_workgroup_id_z 0
		.amdhsa_system_sgpr_workgroup_info 0
		.amdhsa_system_vgpr_workitem_id 0
		.amdhsa_next_free_vgpr 9
		.amdhsa_next_free_sgpr 7
		.amdhsa_accum_offset 12
		.amdhsa_reserve_vcc 1
		.amdhsa_reserve_flat_scratch 0
		.amdhsa_float_round_mode_32 0
		.amdhsa_float_round_mode_16_64 0
		.amdhsa_float_denorm_mode_32 3
		.amdhsa_float_denorm_mode_16_64 3
		.amdhsa_dx10_clamp 1
		.amdhsa_ieee_mode 1
		.amdhsa_fp16_overflow 0
		.amdhsa_tg_split 0
		.amdhsa_exception_fp_ieee_invalid_op 0
		.amdhsa_exception_fp_denorm_src 0
		.amdhsa_exception_fp_ieee_div_zero 0
		.amdhsa_exception_fp_ieee_overflow 0
		.amdhsa_exception_fp_ieee_underflow 0
		.amdhsa_exception_fp_ieee_inexact 0
		.amdhsa_exception_int_div_zero 0
	.end_amdhsa_kernel
	.section	.text._Z30warp_striped_to_blocked_kernelIc5dummyIdELj928ELj2EEvPT_PT0_,"axG",@progbits,_Z30warp_striped_to_blocked_kernelIc5dummyIdELj928ELj2EEvPT_PT0_,comdat
.Lfunc_end59:
	.size	_Z30warp_striped_to_blocked_kernelIc5dummyIdELj928ELj2EEvPT_PT0_, .Lfunc_end59-_Z30warp_striped_to_blocked_kernelIc5dummyIdELj928ELj2EEvPT_PT0_
                                        ; -- End function
	.section	.AMDGPU.csdata,"",@progbits
; Kernel info:
; codeLenInByte = 256
; NumSgprs: 11
; NumVgprs: 9
; NumAgprs: 0
; TotalNumVgprs: 9
; ScratchSize: 0
; MemoryBound: 0
; FloatMode: 240
; IeeeMode: 1
; LDSByteSize: 960 bytes/workgroup (compile time only)
; SGPRBlocks: 1
; VGPRBlocks: 1
; NumSGPRsForWavesPerEU: 11
; NumVGPRsForWavesPerEU: 9
; AccumOffset: 12
; Occupancy: 8
; WaveLimiterHint : 0
; COMPUTE_PGM_RSRC2:SCRATCH_EN: 0
; COMPUTE_PGM_RSRC2:USER_SGPR: 6
; COMPUTE_PGM_RSRC2:TRAP_HANDLER: 0
; COMPUTE_PGM_RSRC2:TGID_X_EN: 1
; COMPUTE_PGM_RSRC2:TGID_Y_EN: 0
; COMPUTE_PGM_RSRC2:TGID_Z_EN: 0
; COMPUTE_PGM_RSRC2:TIDIG_COMP_CNT: 0
; COMPUTE_PGM_RSRC3_GFX90A:ACCUM_OFFSET: 2
; COMPUTE_PGM_RSRC3_GFX90A:TG_SPLIT: 0
	.section	.text._Z30warp_striped_to_blocked_kernelIfiLj165ELj5EEvPT_PT0_,"axG",@progbits,_Z30warp_striped_to_blocked_kernelIfiLj165ELj5EEvPT_PT0_,comdat
	.protected	_Z30warp_striped_to_blocked_kernelIfiLj165ELj5EEvPT_PT0_ ; -- Begin function _Z30warp_striped_to_blocked_kernelIfiLj165ELj5EEvPT_PT0_
	.globl	_Z30warp_striped_to_blocked_kernelIfiLj165ELj5EEvPT_PT0_
	.p2align	8
	.type	_Z30warp_striped_to_blocked_kernelIfiLj165ELj5EEvPT_PT0_,@function
_Z30warp_striped_to_blocked_kernelIfiLj165ELj5EEvPT_PT0_: ; @_Z30warp_striped_to_blocked_kernelIfiLj165ELj5EEvPT_PT0_
; %bb.0:
	s_load_dwordx4 s[0:3], s[4:5], 0x0
	s_mul_i32 s4, s6, 0xa5
	s_mov_b32 s5, 0
	s_lshl_b64 s[4:5], s[4:5], 2
	v_mul_u32_u24_e32 v1, 5, v0
	s_waitcnt lgkmcnt(0)
	s_add_u32 s0, s0, s4
	s_addc_u32 s1, s1, s5
	v_lshlrev_b32_e32 v6, 2, v1
	global_load_dwordx4 v[2:5], v6, s[0:1]
	global_load_dword v1, v6, s[0:1] offset:16
	v_mbcnt_lo_u32_b32 v7, -1, 0
	v_mov_b32_e32 v8, 0x100
	v_mov_b32_e32 v9, 0x84
	v_lshrrev_b32_e32 v10, 6, v0
	v_cmp_gt_u32_e32 vcc, 64, v0
	v_mbcnt_hi_u32_b32 v7, -1, v7
	v_cndmask_b32_e32 v0, v8, v9, vcc
	v_mul_u32_u24_e32 v8, 0x140, v10
	v_add_lshl_u32 v8, v7, v8, 2
	v_add_u32_e32 v9, v8, v0
	v_add_u32_e32 v10, v9, v0
	;; [unrolled: 1-line block ×3, first 2 shown]
	v_lshl_add_u32 v7, v7, 4, v8
	v_add_u32_e32 v0, v11, v0
	s_add_u32 s0, s2, s4
	s_addc_u32 s1, s3, s5
	s_waitcnt vmcnt(1)
	ds_write_b32 v8, v2
	ds_write_b32 v9, v3
	ds_write_b32 v10, v4
	ds_write_b32 v11, v5
	s_waitcnt vmcnt(0)
	ds_write_b32 v0, v1
	; wave barrier
	ds_read2_b32 v[0:1], v7 offset1:1
	ds_read2_b32 v[2:3], v7 offset0:2 offset1:3
	ds_read_b32 v4, v7 offset:16
	s_waitcnt lgkmcnt(2)
	v_cvt_i32_f32_e32 v1, v1
	v_cvt_i32_f32_e32 v0, v0
	s_waitcnt lgkmcnt(1)
	v_cvt_i32_f32_e32 v3, v3
	v_cvt_i32_f32_e32 v2, v2
	s_waitcnt lgkmcnt(0)
	v_cvt_i32_f32_e32 v4, v4
	global_store_dwordx4 v6, v[0:3], s[0:1]
	global_store_dword v6, v4, s[0:1] offset:16
	s_endpgm
	.section	.rodata,"a",@progbits
	.p2align	6, 0x0
	.amdhsa_kernel _Z30warp_striped_to_blocked_kernelIfiLj165ELj5EEvPT_PT0_
		.amdhsa_group_segment_fixed_size 672
		.amdhsa_private_segment_fixed_size 0
		.amdhsa_kernarg_size 16
		.amdhsa_user_sgpr_count 6
		.amdhsa_user_sgpr_private_segment_buffer 1
		.amdhsa_user_sgpr_dispatch_ptr 0
		.amdhsa_user_sgpr_queue_ptr 0
		.amdhsa_user_sgpr_kernarg_segment_ptr 1
		.amdhsa_user_sgpr_dispatch_id 0
		.amdhsa_user_sgpr_flat_scratch_init 0
		.amdhsa_user_sgpr_kernarg_preload_length 0
		.amdhsa_user_sgpr_kernarg_preload_offset 0
		.amdhsa_user_sgpr_private_segment_size 0
		.amdhsa_uses_dynamic_stack 0
		.amdhsa_system_sgpr_private_segment_wavefront_offset 0
		.amdhsa_system_sgpr_workgroup_id_x 1
		.amdhsa_system_sgpr_workgroup_id_y 0
		.amdhsa_system_sgpr_workgroup_id_z 0
		.amdhsa_system_sgpr_workgroup_info 0
		.amdhsa_system_vgpr_workitem_id 0
		.amdhsa_next_free_vgpr 12
		.amdhsa_next_free_sgpr 7
		.amdhsa_accum_offset 12
		.amdhsa_reserve_vcc 1
		.amdhsa_reserve_flat_scratch 0
		.amdhsa_float_round_mode_32 0
		.amdhsa_float_round_mode_16_64 0
		.amdhsa_float_denorm_mode_32 3
		.amdhsa_float_denorm_mode_16_64 3
		.amdhsa_dx10_clamp 1
		.amdhsa_ieee_mode 1
		.amdhsa_fp16_overflow 0
		.amdhsa_tg_split 0
		.amdhsa_exception_fp_ieee_invalid_op 0
		.amdhsa_exception_fp_denorm_src 0
		.amdhsa_exception_fp_ieee_div_zero 0
		.amdhsa_exception_fp_ieee_overflow 0
		.amdhsa_exception_fp_ieee_underflow 0
		.amdhsa_exception_fp_ieee_inexact 0
		.amdhsa_exception_int_div_zero 0
	.end_amdhsa_kernel
	.section	.text._Z30warp_striped_to_blocked_kernelIfiLj165ELj5EEvPT_PT0_,"axG",@progbits,_Z30warp_striped_to_blocked_kernelIfiLj165ELj5EEvPT_PT0_,comdat
.Lfunc_end60:
	.size	_Z30warp_striped_to_blocked_kernelIfiLj165ELj5EEvPT_PT0_, .Lfunc_end60-_Z30warp_striped_to_blocked_kernelIfiLj165ELj5EEvPT_PT0_
                                        ; -- End function
	.section	.AMDGPU.csdata,"",@progbits
; Kernel info:
; codeLenInByte = 276
; NumSgprs: 11
; NumVgprs: 12
; NumAgprs: 0
; TotalNumVgprs: 12
; ScratchSize: 0
; MemoryBound: 0
; FloatMode: 240
; IeeeMode: 1
; LDSByteSize: 672 bytes/workgroup (compile time only)
; SGPRBlocks: 1
; VGPRBlocks: 1
; NumSGPRsForWavesPerEU: 11
; NumVGPRsForWavesPerEU: 12
; AccumOffset: 12
; Occupancy: 8
; WaveLimiterHint : 0
; COMPUTE_PGM_RSRC2:SCRATCH_EN: 0
; COMPUTE_PGM_RSRC2:USER_SGPR: 6
; COMPUTE_PGM_RSRC2:TRAP_HANDLER: 0
; COMPUTE_PGM_RSRC2:TGID_X_EN: 1
; COMPUTE_PGM_RSRC2:TGID_Y_EN: 0
; COMPUTE_PGM_RSRC2:TGID_Z_EN: 0
; COMPUTE_PGM_RSRC2:TIDIG_COMP_CNT: 0
; COMPUTE_PGM_RSRC3_GFX90A:ACCUM_OFFSET: 2
; COMPUTE_PGM_RSRC3_GFX90A:TG_SPLIT: 0
	.section	.text._Z30warp_striped_to_blocked_kernelIidLj165ELj5EEvPT_PT0_,"axG",@progbits,_Z30warp_striped_to_blocked_kernelIidLj165ELj5EEvPT_PT0_,comdat
	.protected	_Z30warp_striped_to_blocked_kernelIidLj165ELj5EEvPT_PT0_ ; -- Begin function _Z30warp_striped_to_blocked_kernelIidLj165ELj5EEvPT_PT0_
	.globl	_Z30warp_striped_to_blocked_kernelIidLj165ELj5EEvPT_PT0_
	.p2align	8
	.type	_Z30warp_striped_to_blocked_kernelIidLj165ELj5EEvPT_PT0_,@function
_Z30warp_striped_to_blocked_kernelIidLj165ELj5EEvPT_PT0_: ; @_Z30warp_striped_to_blocked_kernelIidLj165ELj5EEvPT_PT0_
; %bb.0:
	s_load_dwordx4 s[0:3], s[4:5], 0x0
	s_mul_i32 s4, s6, 0xa5
	s_mov_b32 s5, 0
	s_lshl_b64 s[6:7], s[4:5], 2
	v_mul_u32_u24_e32 v1, 5, v0
	s_waitcnt lgkmcnt(0)
	s_add_u32 s0, s0, s6
	s_addc_u32 s1, s1, s7
	v_lshlrev_b32_e32 v6, 2, v1
	global_load_dwordx4 v[2:5], v6, s[0:1]
	global_load_dword v7, v6, s[0:1] offset:16
	v_mbcnt_lo_u32_b32 v6, -1, 0
	v_mov_b32_e32 v8, 0x100
	v_mov_b32_e32 v9, 0x84
	v_lshrrev_b32_e32 v10, 6, v0
	v_cmp_gt_u32_e32 vcc, 64, v0
	v_mbcnt_hi_u32_b32 v6, -1, v6
	v_cndmask_b32_e32 v0, v8, v9, vcc
	v_mul_u32_u24_e32 v8, 0x140, v10
	v_lshlrev_b32_e32 v10, 3, v1
	v_add_lshl_u32 v1, v6, v8, 2
	v_add_u32_e32 v8, v1, v0
	v_lshl_add_u32 v9, v6, 4, v1
	v_add_u32_e32 v6, v8, v0
	v_add_u32_e32 v11, v6, v0
	;; [unrolled: 1-line block ×3, first 2 shown]
	s_lshl_b64 s[0:1], s[4:5], 3
	s_add_u32 s0, s2, s0
	s_addc_u32 s1, s3, s1
	s_waitcnt vmcnt(1)
	ds_write_b32 v1, v2
	ds_write_b32 v8, v3
	;; [unrolled: 1-line block ×4, first 2 shown]
	s_waitcnt vmcnt(0)
	ds_write_b32 v0, v7
	; wave barrier
	ds_read2_b32 v[2:3], v9 offset1:1
	ds_read2_b32 v[6:7], v9 offset0:2 offset1:3
	ds_read_b32 v8, v9 offset:16
	s_waitcnt lgkmcnt(2)
	v_cvt_f64_i32_e32 v[0:1], v2
	v_cvt_f64_i32_e32 v[2:3], v3
	s_waitcnt lgkmcnt(1)
	v_cvt_f64_i32_e32 v[4:5], v6
	v_cvt_f64_i32_e32 v[6:7], v7
	s_waitcnt lgkmcnt(0)
	v_cvt_f64_i32_e32 v[8:9], v8
	global_store_dwordx4 v10, v[0:3], s[0:1]
	global_store_dwordx4 v10, v[4:7], s[0:1] offset:16
	global_store_dwordx2 v10, v[8:9], s[0:1] offset:32
	s_endpgm
	.section	.rodata,"a",@progbits
	.p2align	6, 0x0
	.amdhsa_kernel _Z30warp_striped_to_blocked_kernelIidLj165ELj5EEvPT_PT0_
		.amdhsa_group_segment_fixed_size 672
		.amdhsa_private_segment_fixed_size 0
		.amdhsa_kernarg_size 16
		.amdhsa_user_sgpr_count 6
		.amdhsa_user_sgpr_private_segment_buffer 1
		.amdhsa_user_sgpr_dispatch_ptr 0
		.amdhsa_user_sgpr_queue_ptr 0
		.amdhsa_user_sgpr_kernarg_segment_ptr 1
		.amdhsa_user_sgpr_dispatch_id 0
		.amdhsa_user_sgpr_flat_scratch_init 0
		.amdhsa_user_sgpr_kernarg_preload_length 0
		.amdhsa_user_sgpr_kernarg_preload_offset 0
		.amdhsa_user_sgpr_private_segment_size 0
		.amdhsa_uses_dynamic_stack 0
		.amdhsa_system_sgpr_private_segment_wavefront_offset 0
		.amdhsa_system_sgpr_workgroup_id_x 1
		.amdhsa_system_sgpr_workgroup_id_y 0
		.amdhsa_system_sgpr_workgroup_id_z 0
		.amdhsa_system_sgpr_workgroup_info 0
		.amdhsa_system_vgpr_workitem_id 0
		.amdhsa_next_free_vgpr 12
		.amdhsa_next_free_sgpr 8
		.amdhsa_accum_offset 12
		.amdhsa_reserve_vcc 1
		.amdhsa_reserve_flat_scratch 0
		.amdhsa_float_round_mode_32 0
		.amdhsa_float_round_mode_16_64 0
		.amdhsa_float_denorm_mode_32 3
		.amdhsa_float_denorm_mode_16_64 3
		.amdhsa_dx10_clamp 1
		.amdhsa_ieee_mode 1
		.amdhsa_fp16_overflow 0
		.amdhsa_tg_split 0
		.amdhsa_exception_fp_ieee_invalid_op 0
		.amdhsa_exception_fp_denorm_src 0
		.amdhsa_exception_fp_ieee_div_zero 0
		.amdhsa_exception_fp_ieee_overflow 0
		.amdhsa_exception_fp_ieee_underflow 0
		.amdhsa_exception_fp_ieee_inexact 0
		.amdhsa_exception_int_div_zero 0
	.end_amdhsa_kernel
	.section	.text._Z30warp_striped_to_blocked_kernelIidLj165ELj5EEvPT_PT0_,"axG",@progbits,_Z30warp_striped_to_blocked_kernelIidLj165ELj5EEvPT_PT0_,comdat
.Lfunc_end61:
	.size	_Z30warp_striped_to_blocked_kernelIidLj165ELj5EEvPT_PT0_, .Lfunc_end61-_Z30warp_striped_to_blocked_kernelIidLj165ELj5EEvPT_PT0_
                                        ; -- End function
	.section	.AMDGPU.csdata,"",@progbits
; Kernel info:
; codeLenInByte = 292
; NumSgprs: 12
; NumVgprs: 12
; NumAgprs: 0
; TotalNumVgprs: 12
; ScratchSize: 0
; MemoryBound: 0
; FloatMode: 240
; IeeeMode: 1
; LDSByteSize: 672 bytes/workgroup (compile time only)
; SGPRBlocks: 1
; VGPRBlocks: 1
; NumSGPRsForWavesPerEU: 12
; NumVGPRsForWavesPerEU: 12
; AccumOffset: 12
; Occupancy: 8
; WaveLimiterHint : 0
; COMPUTE_PGM_RSRC2:SCRATCH_EN: 0
; COMPUTE_PGM_RSRC2:USER_SGPR: 6
; COMPUTE_PGM_RSRC2:TRAP_HANDLER: 0
; COMPUTE_PGM_RSRC2:TGID_X_EN: 1
; COMPUTE_PGM_RSRC2:TGID_Y_EN: 0
; COMPUTE_PGM_RSRC2:TGID_Z_EN: 0
; COMPUTE_PGM_RSRC2:TIDIG_COMP_CNT: 0
; COMPUTE_PGM_RSRC3_GFX90A:ACCUM_OFFSET: 2
; COMPUTE_PGM_RSRC3_GFX90A:TG_SPLIT: 0
	.section	.text._Z30warp_striped_to_blocked_kernelIyyLj192ELj3EEvPT_PT0_,"axG",@progbits,_Z30warp_striped_to_blocked_kernelIyyLj192ELj3EEvPT_PT0_,comdat
	.protected	_Z30warp_striped_to_blocked_kernelIyyLj192ELj3EEvPT_PT0_ ; -- Begin function _Z30warp_striped_to_blocked_kernelIyyLj192ELj3EEvPT_PT0_
	.globl	_Z30warp_striped_to_blocked_kernelIyyLj192ELj3EEvPT_PT0_
	.p2align	8
	.type	_Z30warp_striped_to_blocked_kernelIyyLj192ELj3EEvPT_PT0_,@function
_Z30warp_striped_to_blocked_kernelIyyLj192ELj3EEvPT_PT0_: ; @_Z30warp_striped_to_blocked_kernelIyyLj192ELj3EEvPT_PT0_
; %bb.0:
	s_load_dwordx4 s[0:3], s[4:5], 0x0
	s_mul_i32 s4, s6, 0xc0
	s_mov_b32 s5, 0
	s_lshl_b64 s[4:5], s[4:5], 3
	v_mul_u32_u24_e32 v1, 3, v0
	s_waitcnt lgkmcnt(0)
	s_add_u32 s0, s0, s4
	s_addc_u32 s1, s1, s5
	v_lshlrev_b32_e32 v8, 3, v1
	global_load_dwordx4 v[2:5], v8, s[0:1]
	global_load_dwordx2 v[6:7], v8, s[0:1] offset:16
	v_mbcnt_lo_u32_b32 v1, -1, 0
	v_lshrrev_b32_e32 v0, 6, v0
	v_mbcnt_hi_u32_b32 v1, -1, v1
	v_mul_u32_u24_e32 v0, 0xc0, v0
	v_add_lshl_u32 v0, v1, v0, 3
	v_lshl_add_u32 v9, v1, 4, v0
	s_add_u32 s0, s2, s4
	s_addc_u32 s1, s3, s5
	s_waitcnt vmcnt(1)
	ds_write2st64_b64 v0, v[2:3], v[4:5] offset1:1
	s_waitcnt vmcnt(0)
	ds_write_b64 v0, v[6:7] offset:1024
	; wave barrier
	ds_read2_b64 v[0:3], v9 offset1:1
	ds_read_b64 v[4:5], v9 offset:16
	s_waitcnt lgkmcnt(1)
	global_store_dwordx4 v8, v[0:3], s[0:1]
	s_waitcnt lgkmcnt(0)
	global_store_dwordx2 v8, v[4:5], s[0:1] offset:16
	s_endpgm
	.section	.rodata,"a",@progbits
	.p2align	6, 0x0
	.amdhsa_kernel _Z30warp_striped_to_blocked_kernelIyyLj192ELj3EEvPT_PT0_
		.amdhsa_group_segment_fixed_size 1536
		.amdhsa_private_segment_fixed_size 0
		.amdhsa_kernarg_size 16
		.amdhsa_user_sgpr_count 6
		.amdhsa_user_sgpr_private_segment_buffer 1
		.amdhsa_user_sgpr_dispatch_ptr 0
		.amdhsa_user_sgpr_queue_ptr 0
		.amdhsa_user_sgpr_kernarg_segment_ptr 1
		.amdhsa_user_sgpr_dispatch_id 0
		.amdhsa_user_sgpr_flat_scratch_init 0
		.amdhsa_user_sgpr_kernarg_preload_length 0
		.amdhsa_user_sgpr_kernarg_preload_offset 0
		.amdhsa_user_sgpr_private_segment_size 0
		.amdhsa_uses_dynamic_stack 0
		.amdhsa_system_sgpr_private_segment_wavefront_offset 0
		.amdhsa_system_sgpr_workgroup_id_x 1
		.amdhsa_system_sgpr_workgroup_id_y 0
		.amdhsa_system_sgpr_workgroup_id_z 0
		.amdhsa_system_sgpr_workgroup_info 0
		.amdhsa_system_vgpr_workitem_id 0
		.amdhsa_next_free_vgpr 10
		.amdhsa_next_free_sgpr 7
		.amdhsa_accum_offset 12
		.amdhsa_reserve_vcc 0
		.amdhsa_reserve_flat_scratch 0
		.amdhsa_float_round_mode_32 0
		.amdhsa_float_round_mode_16_64 0
		.amdhsa_float_denorm_mode_32 3
		.amdhsa_float_denorm_mode_16_64 3
		.amdhsa_dx10_clamp 1
		.amdhsa_ieee_mode 1
		.amdhsa_fp16_overflow 0
		.amdhsa_tg_split 0
		.amdhsa_exception_fp_ieee_invalid_op 0
		.amdhsa_exception_fp_denorm_src 0
		.amdhsa_exception_fp_ieee_div_zero 0
		.amdhsa_exception_fp_ieee_overflow 0
		.amdhsa_exception_fp_ieee_underflow 0
		.amdhsa_exception_fp_ieee_inexact 0
		.amdhsa_exception_int_div_zero 0
	.end_amdhsa_kernel
	.section	.text._Z30warp_striped_to_blocked_kernelIyyLj192ELj3EEvPT_PT0_,"axG",@progbits,_Z30warp_striped_to_blocked_kernelIyyLj192ELj3EEvPT_PT0_,comdat
.Lfunc_end62:
	.size	_Z30warp_striped_to_blocked_kernelIyyLj192ELj3EEvPT_PT0_, .Lfunc_end62-_Z30warp_striped_to_blocked_kernelIyyLj192ELj3EEvPT_PT0_
                                        ; -- End function
	.section	.AMDGPU.csdata,"",@progbits
; Kernel info:
; codeLenInByte = 180
; NumSgprs: 11
; NumVgprs: 10
; NumAgprs: 0
; TotalNumVgprs: 10
; ScratchSize: 0
; MemoryBound: 0
; FloatMode: 240
; IeeeMode: 1
; LDSByteSize: 1536 bytes/workgroup (compile time only)
; SGPRBlocks: 1
; VGPRBlocks: 1
; NumSGPRsForWavesPerEU: 11
; NumVGPRsForWavesPerEU: 10
; AccumOffset: 12
; Occupancy: 8
; WaveLimiterHint : 0
; COMPUTE_PGM_RSRC2:SCRATCH_EN: 0
; COMPUTE_PGM_RSRC2:USER_SGPR: 6
; COMPUTE_PGM_RSRC2:TRAP_HANDLER: 0
; COMPUTE_PGM_RSRC2:TGID_X_EN: 1
; COMPUTE_PGM_RSRC2:TGID_Y_EN: 0
; COMPUTE_PGM_RSRC2:TGID_Z_EN: 0
; COMPUTE_PGM_RSRC2:TIDIG_COMP_CNT: 0
; COMPUTE_PGM_RSRC3_GFX90A:ACCUM_OFFSET: 2
; COMPUTE_PGM_RSRC3_GFX90A:TG_SPLIT: 0
	.section	.text._Z30warp_striped_to_blocked_kernelIiiLj384ELj3EEvPT_PT0_,"axG",@progbits,_Z30warp_striped_to_blocked_kernelIiiLj384ELj3EEvPT_PT0_,comdat
	.protected	_Z30warp_striped_to_blocked_kernelIiiLj384ELj3EEvPT_PT0_ ; -- Begin function _Z30warp_striped_to_blocked_kernelIiiLj384ELj3EEvPT_PT0_
	.globl	_Z30warp_striped_to_blocked_kernelIiiLj384ELj3EEvPT_PT0_
	.p2align	8
	.type	_Z30warp_striped_to_blocked_kernelIiiLj384ELj3EEvPT_PT0_,@function
_Z30warp_striped_to_blocked_kernelIiiLj384ELj3EEvPT_PT0_: ; @_Z30warp_striped_to_blocked_kernelIiiLj384ELj3EEvPT_PT0_
; %bb.0:
	s_load_dwordx4 s[0:3], s[4:5], 0x0
	s_mul_i32 s4, s6, 0x180
	s_mov_b32 s5, 0
	s_lshl_b64 s[4:5], s[4:5], 2
	v_mul_u32_u24_e32 v1, 3, v0
	s_waitcnt lgkmcnt(0)
	s_add_u32 s0, s0, s4
	s_addc_u32 s1, s1, s5
	v_lshlrev_b32_e32 v5, 2, v1
	global_load_dwordx3 v[2:4], v5, s[0:1]
	v_mbcnt_lo_u32_b32 v1, -1, 0
	v_lshrrev_b32_e32 v0, 6, v0
	v_mbcnt_hi_u32_b32 v1, -1, v1
	v_mul_u32_u24_e32 v0, 0xc0, v0
	v_add_lshl_u32 v0, v1, v0, 2
	v_lshl_add_u32 v6, v1, 3, v0
	s_add_u32 s0, s2, s4
	s_addc_u32 s1, s3, s5
	s_waitcnt vmcnt(0)
	ds_write2st64_b32 v0, v2, v3 offset1:1
	ds_write_b32 v0, v4 offset:512
	; wave barrier
	ds_read2_b32 v[0:1], v6 offset1:1
	ds_read_b32 v2, v6 offset:8
	s_waitcnt lgkmcnt(0)
	global_store_dwordx3 v5, v[0:2], s[0:1]
	s_endpgm
	.section	.rodata,"a",@progbits
	.p2align	6, 0x0
	.amdhsa_kernel _Z30warp_striped_to_blocked_kernelIiiLj384ELj3EEvPT_PT0_
		.amdhsa_group_segment_fixed_size 1536
		.amdhsa_private_segment_fixed_size 0
		.amdhsa_kernarg_size 16
		.amdhsa_user_sgpr_count 6
		.amdhsa_user_sgpr_private_segment_buffer 1
		.amdhsa_user_sgpr_dispatch_ptr 0
		.amdhsa_user_sgpr_queue_ptr 0
		.amdhsa_user_sgpr_kernarg_segment_ptr 1
		.amdhsa_user_sgpr_dispatch_id 0
		.amdhsa_user_sgpr_flat_scratch_init 0
		.amdhsa_user_sgpr_kernarg_preload_length 0
		.amdhsa_user_sgpr_kernarg_preload_offset 0
		.amdhsa_user_sgpr_private_segment_size 0
		.amdhsa_uses_dynamic_stack 0
		.amdhsa_system_sgpr_private_segment_wavefront_offset 0
		.amdhsa_system_sgpr_workgroup_id_x 1
		.amdhsa_system_sgpr_workgroup_id_y 0
		.amdhsa_system_sgpr_workgroup_id_z 0
		.amdhsa_system_sgpr_workgroup_info 0
		.amdhsa_system_vgpr_workitem_id 0
		.amdhsa_next_free_vgpr 7
		.amdhsa_next_free_sgpr 7
		.amdhsa_accum_offset 8
		.amdhsa_reserve_vcc 0
		.amdhsa_reserve_flat_scratch 0
		.amdhsa_float_round_mode_32 0
		.amdhsa_float_round_mode_16_64 0
		.amdhsa_float_denorm_mode_32 3
		.amdhsa_float_denorm_mode_16_64 3
		.amdhsa_dx10_clamp 1
		.amdhsa_ieee_mode 1
		.amdhsa_fp16_overflow 0
		.amdhsa_tg_split 0
		.amdhsa_exception_fp_ieee_invalid_op 0
		.amdhsa_exception_fp_denorm_src 0
		.amdhsa_exception_fp_ieee_div_zero 0
		.amdhsa_exception_fp_ieee_overflow 0
		.amdhsa_exception_fp_ieee_underflow 0
		.amdhsa_exception_fp_ieee_inexact 0
		.amdhsa_exception_int_div_zero 0
	.end_amdhsa_kernel
	.section	.text._Z30warp_striped_to_blocked_kernelIiiLj384ELj3EEvPT_PT0_,"axG",@progbits,_Z30warp_striped_to_blocked_kernelIiiLj384ELj3EEvPT_PT0_,comdat
.Lfunc_end63:
	.size	_Z30warp_striped_to_blocked_kernelIiiLj384ELj3EEvPT_PT0_, .Lfunc_end63-_Z30warp_striped_to_blocked_kernelIiiLj384ELj3EEvPT_PT0_
                                        ; -- End function
	.section	.AMDGPU.csdata,"",@progbits
; Kernel info:
; codeLenInByte = 156
; NumSgprs: 11
; NumVgprs: 7
; NumAgprs: 0
; TotalNumVgprs: 7
; ScratchSize: 0
; MemoryBound: 0
; FloatMode: 240
; IeeeMode: 1
; LDSByteSize: 1536 bytes/workgroup (compile time only)
; SGPRBlocks: 1
; VGPRBlocks: 0
; NumSGPRsForWavesPerEU: 11
; NumVGPRsForWavesPerEU: 7
; AccumOffset: 8
; Occupancy: 8
; WaveLimiterHint : 0
; COMPUTE_PGM_RSRC2:SCRATCH_EN: 0
; COMPUTE_PGM_RSRC2:USER_SGPR: 6
; COMPUTE_PGM_RSRC2:TRAP_HANDLER: 0
; COMPUTE_PGM_RSRC2:TGID_X_EN: 1
; COMPUTE_PGM_RSRC2:TGID_Y_EN: 0
; COMPUTE_PGM_RSRC2:TGID_Z_EN: 0
; COMPUTE_PGM_RSRC2:TIDIG_COMP_CNT: 0
; COMPUTE_PGM_RSRC3_GFX90A:ACCUM_OFFSET: 1
; COMPUTE_PGM_RSRC3_GFX90A:TG_SPLIT: 0
	.section	.text._Z30warp_striped_to_blocked_kernelIs5dummyIfELj896ELj7EEvPT_PT0_,"axG",@progbits,_Z30warp_striped_to_blocked_kernelIs5dummyIfELj896ELj7EEvPT_PT0_,comdat
	.protected	_Z30warp_striped_to_blocked_kernelIs5dummyIfELj896ELj7EEvPT_PT0_ ; -- Begin function _Z30warp_striped_to_blocked_kernelIs5dummyIfELj896ELj7EEvPT_PT0_
	.globl	_Z30warp_striped_to_blocked_kernelIs5dummyIfELj896ELj7EEvPT_PT0_
	.p2align	8
	.type	_Z30warp_striped_to_blocked_kernelIs5dummyIfELj896ELj7EEvPT_PT0_,@function
_Z30warp_striped_to_blocked_kernelIs5dummyIfELj896ELj7EEvPT_PT0_: ; @_Z30warp_striped_to_blocked_kernelIs5dummyIfELj896ELj7EEvPT_PT0_
; %bb.0:
	s_load_dwordx4 s[0:3], s[4:5], 0x0
	s_mul_i32 s4, s6, 0x380
	s_mov_b32 s5, 0
	s_lshl_b64 s[6:7], s[4:5], 1
	v_mul_u32_u24_e32 v1, 7, v0
	s_waitcnt lgkmcnt(0)
	s_add_u32 s0, s0, s6
	s_addc_u32 s1, s1, s7
	v_lshlrev_b32_e32 v5, 1, v1
	global_load_dwordx3 v[2:4], v5, s[0:1]
	global_load_ushort v6, v5, s[0:1] offset:12
	v_mbcnt_lo_u32_b32 v5, -1, 0
	v_lshrrev_b32_e32 v0, 6, v0
	v_mbcnt_hi_u32_b32 v5, -1, v5
	v_mul_u32_u24_e32 v0, 0x1c0, v0
	v_add_lshl_u32 v0, v5, v0, 1
	v_mad_u32_u24 v5, v5, 12, v0
	v_lshlrev_b32_e32 v14, 3, v1
	v_mov_b32_e32 v7, 1
	s_lshl_b64 s[0:1], s[4:5], 3
	s_add_u32 s0, s2, s0
	s_addc_u32 s1, s3, s1
	s_waitcnt vmcnt(1)
	ds_write_b16 v0, v2
	ds_write_b16_d16_hi v0, v2 offset:128
	ds_write_b16 v0, v3 offset:256
	ds_write_b16_d16_hi v0, v3 offset:384
	ds_write_b16 v0, v4 offset:512
	ds_write_b16_d16_hi v0, v4 offset:640
	s_waitcnt vmcnt(0)
	ds_write_b16 v0, v6 offset:768
	; wave barrier
	ds_read_b96 v[0:2], v5
	ds_read_i16 v3, v5 offset:12
	s_waitcnt lgkmcnt(1)
	v_add_u32_sdwa v4, sext(v0), v7 dst_sel:DWORD dst_unused:UNUSED_PAD src0_sel:WORD_0 src1_sel:DWORD
	v_lshlrev_b32_sdwa v5, v7, sext(v0) dst_sel:DWORD dst_unused:UNUSED_PAD src0_sel:DWORD src1_sel:WORD_0
	v_add_u32_sdwa v6, sext(v0), v7 dst_sel:DWORD dst_unused:UNUSED_PAD src0_sel:WORD_1 src1_sel:DWORD
	v_lshlrev_b32_sdwa v8, v7, sext(v0) dst_sel:DWORD dst_unused:UNUSED_PAD src0_sel:DWORD src1_sel:WORD_1
	v_add_u32_sdwa v9, sext(v1), v7 dst_sel:DWORD dst_unused:UNUSED_PAD src0_sel:WORD_0 src1_sel:DWORD
	v_lshlrev_b32_sdwa v10, v7, sext(v1) dst_sel:DWORD dst_unused:UNUSED_PAD src0_sel:DWORD src1_sel:WORD_0
	v_add_u32_sdwa v11, sext(v1), v7 dst_sel:DWORD dst_unused:UNUSED_PAD src0_sel:WORD_1 src1_sel:DWORD
	v_lshlrev_b32_sdwa v12, v7, sext(v1) dst_sel:DWORD dst_unused:UNUSED_PAD src0_sel:DWORD src1_sel:WORD_1
	;; [unrolled: 4-line block ×3, first 2 shown]
	s_waitcnt lgkmcnt(0)
	v_add_u32_e32 v18, 1, v3
	v_lshlrev_b32_e32 v19, 1, v3
	v_cvt_f32_i32_e32 v1, v5
	v_cvt_f32_i32_e32 v0, v4
	;; [unrolled: 1-line block ×14, first 2 shown]
	global_store_dwordx4 v14, v[0:3], s[0:1]
	global_store_dwordx4 v14, v[4:7], s[0:1] offset:16
	global_store_dwordx4 v14, v[8:11], s[0:1] offset:32
	global_store_dwordx2 v14, v[12:13], s[0:1] offset:48
	s_endpgm
	.section	.rodata,"a",@progbits
	.p2align	6, 0x0
	.amdhsa_kernel _Z30warp_striped_to_blocked_kernelIs5dummyIfELj896ELj7EEvPT_PT0_
		.amdhsa_group_segment_fixed_size 1792
		.amdhsa_private_segment_fixed_size 0
		.amdhsa_kernarg_size 16
		.amdhsa_user_sgpr_count 6
		.amdhsa_user_sgpr_private_segment_buffer 1
		.amdhsa_user_sgpr_dispatch_ptr 0
		.amdhsa_user_sgpr_queue_ptr 0
		.amdhsa_user_sgpr_kernarg_segment_ptr 1
		.amdhsa_user_sgpr_dispatch_id 0
		.amdhsa_user_sgpr_flat_scratch_init 0
		.amdhsa_user_sgpr_kernarg_preload_length 0
		.amdhsa_user_sgpr_kernarg_preload_offset 0
		.amdhsa_user_sgpr_private_segment_size 0
		.amdhsa_uses_dynamic_stack 0
		.amdhsa_system_sgpr_private_segment_wavefront_offset 0
		.amdhsa_system_sgpr_workgroup_id_x 1
		.amdhsa_system_sgpr_workgroup_id_y 0
		.amdhsa_system_sgpr_workgroup_id_z 0
		.amdhsa_system_sgpr_workgroup_info 0
		.amdhsa_system_vgpr_workitem_id 0
		.amdhsa_next_free_vgpr 20
		.amdhsa_next_free_sgpr 8
		.amdhsa_accum_offset 20
		.amdhsa_reserve_vcc 0
		.amdhsa_reserve_flat_scratch 0
		.amdhsa_float_round_mode_32 0
		.amdhsa_float_round_mode_16_64 0
		.amdhsa_float_denorm_mode_32 3
		.amdhsa_float_denorm_mode_16_64 3
		.amdhsa_dx10_clamp 1
		.amdhsa_ieee_mode 1
		.amdhsa_fp16_overflow 0
		.amdhsa_tg_split 0
		.amdhsa_exception_fp_ieee_invalid_op 0
		.amdhsa_exception_fp_denorm_src 0
		.amdhsa_exception_fp_ieee_div_zero 0
		.amdhsa_exception_fp_ieee_overflow 0
		.amdhsa_exception_fp_ieee_underflow 0
		.amdhsa_exception_fp_ieee_inexact 0
		.amdhsa_exception_int_div_zero 0
	.end_amdhsa_kernel
	.section	.text._Z30warp_striped_to_blocked_kernelIs5dummyIfELj896ELj7EEvPT_PT0_,"axG",@progbits,_Z30warp_striped_to_blocked_kernelIs5dummyIfELj896ELj7EEvPT_PT0_,comdat
.Lfunc_end64:
	.size	_Z30warp_striped_to_blocked_kernelIs5dummyIfELj896ELj7EEvPT_PT0_, .Lfunc_end64-_Z30warp_striped_to_blocked_kernelIs5dummyIfELj896ELj7EEvPT_PT0_
                                        ; -- End function
	.section	.AMDGPU.csdata,"",@progbits
; Kernel info:
; codeLenInByte = 408
; NumSgprs: 12
; NumVgprs: 20
; NumAgprs: 0
; TotalNumVgprs: 20
; ScratchSize: 0
; MemoryBound: 0
; FloatMode: 240
; IeeeMode: 1
; LDSByteSize: 1792 bytes/workgroup (compile time only)
; SGPRBlocks: 1
; VGPRBlocks: 2
; NumSGPRsForWavesPerEU: 12
; NumVGPRsForWavesPerEU: 20
; AccumOffset: 20
; Occupancy: 8
; WaveLimiterHint : 0
; COMPUTE_PGM_RSRC2:SCRATCH_EN: 0
; COMPUTE_PGM_RSRC2:USER_SGPR: 6
; COMPUTE_PGM_RSRC2:TRAP_HANDLER: 0
; COMPUTE_PGM_RSRC2:TGID_X_EN: 1
; COMPUTE_PGM_RSRC2:TGID_Y_EN: 0
; COMPUTE_PGM_RSRC2:TGID_Z_EN: 0
; COMPUTE_PGM_RSRC2:TIDIG_COMP_CNT: 0
; COMPUTE_PGM_RSRC3_GFX90A:ACCUM_OFFSET: 4
; COMPUTE_PGM_RSRC3_GFX90A:TG_SPLIT: 0
	.section	.text._Z30warp_striped_to_blocked_kernelIiiLj2560ELj5EEvPT_PT0_,"axG",@progbits,_Z30warp_striped_to_blocked_kernelIiiLj2560ELj5EEvPT_PT0_,comdat
	.protected	_Z30warp_striped_to_blocked_kernelIiiLj2560ELj5EEvPT_PT0_ ; -- Begin function _Z30warp_striped_to_blocked_kernelIiiLj2560ELj5EEvPT_PT0_
	.globl	_Z30warp_striped_to_blocked_kernelIiiLj2560ELj5EEvPT_PT0_
	.p2align	8
	.type	_Z30warp_striped_to_blocked_kernelIiiLj2560ELj5EEvPT_PT0_,@function
_Z30warp_striped_to_blocked_kernelIiiLj2560ELj5EEvPT_PT0_: ; @_Z30warp_striped_to_blocked_kernelIiiLj2560ELj5EEvPT_PT0_
; %bb.0:
	s_load_dwordx4 s[0:3], s[4:5], 0x0
	s_mul_i32 s4, s6, 0xa00
	s_mov_b32 s5, 0
	s_lshl_b64 s[4:5], s[4:5], 2
	v_mul_u32_u24_e32 v1, 5, v0
	s_waitcnt lgkmcnt(0)
	s_add_u32 s0, s0, s4
	s_addc_u32 s1, s1, s5
	v_lshlrev_b32_e32 v6, 2, v1
	global_load_dwordx4 v[2:5], v6, s[0:1]
	global_load_dword v1, v6, s[0:1] offset:16
	v_mbcnt_lo_u32_b32 v7, -1, 0
	v_lshrrev_b32_e32 v0, 6, v0
	v_mbcnt_hi_u32_b32 v7, -1, v7
	v_mul_u32_u24_e32 v0, 0x140, v0
	v_add_lshl_u32 v0, v7, v0, 2
	v_lshl_add_u32 v7, v7, 4, v0
	s_add_u32 s0, s2, s4
	s_addc_u32 s1, s3, s5
	s_waitcnt vmcnt(1)
	ds_write2st64_b32 v0, v2, v3 offset1:1
	ds_write2st64_b32 v0, v4, v5 offset0:2 offset1:3
	s_waitcnt vmcnt(0)
	ds_write_b32 v0, v1 offset:1024
	; wave barrier
	ds_read2_b32 v[0:1], v7 offset1:1
	ds_read2_b32 v[2:3], v7 offset0:2 offset1:3
	ds_read_b32 v4, v7 offset:16
	s_waitcnt lgkmcnt(1)
	global_store_dwordx4 v6, v[0:3], s[0:1]
	s_waitcnt lgkmcnt(0)
	global_store_dword v6, v4, s[0:1] offset:16
	s_endpgm
	.section	.rodata,"a",@progbits
	.p2align	6, 0x0
	.amdhsa_kernel _Z30warp_striped_to_blocked_kernelIiiLj2560ELj5EEvPT_PT0_
		.amdhsa_group_segment_fixed_size 10240
		.amdhsa_private_segment_fixed_size 0
		.amdhsa_kernarg_size 16
		.amdhsa_user_sgpr_count 6
		.amdhsa_user_sgpr_private_segment_buffer 1
		.amdhsa_user_sgpr_dispatch_ptr 0
		.amdhsa_user_sgpr_queue_ptr 0
		.amdhsa_user_sgpr_kernarg_segment_ptr 1
		.amdhsa_user_sgpr_dispatch_id 0
		.amdhsa_user_sgpr_flat_scratch_init 0
		.amdhsa_user_sgpr_kernarg_preload_length 0
		.amdhsa_user_sgpr_kernarg_preload_offset 0
		.amdhsa_user_sgpr_private_segment_size 0
		.amdhsa_uses_dynamic_stack 0
		.amdhsa_system_sgpr_private_segment_wavefront_offset 0
		.amdhsa_system_sgpr_workgroup_id_x 1
		.amdhsa_system_sgpr_workgroup_id_y 0
		.amdhsa_system_sgpr_workgroup_id_z 0
		.amdhsa_system_sgpr_workgroup_info 0
		.amdhsa_system_vgpr_workitem_id 0
		.amdhsa_next_free_vgpr 8
		.amdhsa_next_free_sgpr 7
		.amdhsa_accum_offset 8
		.amdhsa_reserve_vcc 0
		.amdhsa_reserve_flat_scratch 0
		.amdhsa_float_round_mode_32 0
		.amdhsa_float_round_mode_16_64 0
		.amdhsa_float_denorm_mode_32 3
		.amdhsa_float_denorm_mode_16_64 3
		.amdhsa_dx10_clamp 1
		.amdhsa_ieee_mode 1
		.amdhsa_fp16_overflow 0
		.amdhsa_tg_split 0
		.amdhsa_exception_fp_ieee_invalid_op 0
		.amdhsa_exception_fp_denorm_src 0
		.amdhsa_exception_fp_ieee_div_zero 0
		.amdhsa_exception_fp_ieee_overflow 0
		.amdhsa_exception_fp_ieee_underflow 0
		.amdhsa_exception_fp_ieee_inexact 0
		.amdhsa_exception_int_div_zero 0
	.end_amdhsa_kernel
	.section	.text._Z30warp_striped_to_blocked_kernelIiiLj2560ELj5EEvPT_PT0_,"axG",@progbits,_Z30warp_striped_to_blocked_kernelIiiLj2560ELj5EEvPT_PT0_,comdat
.Lfunc_end65:
	.size	_Z30warp_striped_to_blocked_kernelIiiLj2560ELj5EEvPT_PT0_, .Lfunc_end65-_Z30warp_striped_to_blocked_kernelIiiLj2560ELj5EEvPT_PT0_
                                        ; -- End function
	.section	.AMDGPU.csdata,"",@progbits
; Kernel info:
; codeLenInByte = 196
; NumSgprs: 11
; NumVgprs: 8
; NumAgprs: 0
; TotalNumVgprs: 8
; ScratchSize: 0
; MemoryBound: 0
; FloatMode: 240
; IeeeMode: 1
; LDSByteSize: 10240 bytes/workgroup (compile time only)
; SGPRBlocks: 1
; VGPRBlocks: 0
; NumSGPRsForWavesPerEU: 11
; NumVGPRsForWavesPerEU: 8
; AccumOffset: 8
; Occupancy: 8
; WaveLimiterHint : 0
; COMPUTE_PGM_RSRC2:SCRATCH_EN: 0
; COMPUTE_PGM_RSRC2:USER_SGPR: 6
; COMPUTE_PGM_RSRC2:TRAP_HANDLER: 0
; COMPUTE_PGM_RSRC2:TGID_X_EN: 1
; COMPUTE_PGM_RSRC2:TGID_Y_EN: 0
; COMPUTE_PGM_RSRC2:TGID_Z_EN: 0
; COMPUTE_PGM_RSRC2:TIDIG_COMP_CNT: 0
; COMPUTE_PGM_RSRC3_GFX90A:ACCUM_OFFSET: 1
; COMPUTE_PGM_RSRC3_GFX90A:TG_SPLIT: 0
	.section	.text._Z30warp_striped_to_blocked_kernelIxxLj1024ELj4EEvPT_PT0_,"axG",@progbits,_Z30warp_striped_to_blocked_kernelIxxLj1024ELj4EEvPT_PT0_,comdat
	.protected	_Z30warp_striped_to_blocked_kernelIxxLj1024ELj4EEvPT_PT0_ ; -- Begin function _Z30warp_striped_to_blocked_kernelIxxLj1024ELj4EEvPT_PT0_
	.globl	_Z30warp_striped_to_blocked_kernelIxxLj1024ELj4EEvPT_PT0_
	.p2align	8
	.type	_Z30warp_striped_to_blocked_kernelIxxLj1024ELj4EEvPT_PT0_,@function
_Z30warp_striped_to_blocked_kernelIxxLj1024ELj4EEvPT_PT0_: ; @_Z30warp_striped_to_blocked_kernelIxxLj1024ELj4EEvPT_PT0_
; %bb.0:
	s_load_dwordx4 s[0:3], s[4:5], 0x0
	s_lshl_b32 s4, s6, 10
	s_mov_b32 s5, 0
	s_lshl_b64 s[4:5], s[4:5], 3
	v_lshlrev_b32_e32 v10, 5, v0
	s_waitcnt lgkmcnt(0)
	s_add_u32 s0, s0, s4
	s_addc_u32 s1, s1, s5
	global_load_dwordx4 v[2:5], v10, s[0:1]
	global_load_dwordx4 v[6:9], v10, s[0:1] offset:16
	v_mbcnt_lo_u32_b32 v1, -1, 0
	s_movk_i32 s0, 0x700
	v_lshlrev_b32_e32 v11, 2, v0
	v_mbcnt_hi_u32_b32 v1, -1, v1
	v_and_b32_e32 v0, 0x1c0, v0
	v_and_or_b32 v11, v11, s0, v1
	v_add_u32_e32 v0, v1, v0
	v_lshrrev_b32_e32 v1, 5, v11
	v_add_u32_e32 v12, 64, v11
	v_or_b32_e32 v13, 0x80, v11
	v_add_u32_e32 v14, 0xc0, v11
	v_lshlrev_b32_e32 v15, 2, v0
	v_bfe_u32 v0, v0, 3, 27
	v_add_lshl_u32 v1, v1, v11, 3
	v_lshrrev_b32_e32 v11, 5, v12
	v_lshrrev_b32_e32 v16, 5, v13
	;; [unrolled: 1-line block ×3, first 2 shown]
	v_add_lshl_u32 v15, v0, v15, 3
	v_add_lshl_u32 v0, v11, v12, 3
	;; [unrolled: 1-line block ×4, first 2 shown]
	s_add_u32 s0, s2, s4
	s_addc_u32 s1, s3, s5
	s_waitcnt vmcnt(1)
	ds_write_b64 v1, v[2:3]
	ds_write_b64 v0, v[4:5]
	s_waitcnt vmcnt(0)
	ds_write_b64 v11, v[6:7]
	ds_write_b64 v12, v[8:9]
	; wave barrier
	ds_read2_b64 v[0:3], v15 offset1:1
	ds_read2_b64 v[4:7], v15 offset0:2 offset1:3
	s_waitcnt lgkmcnt(1)
	global_store_dwordx4 v10, v[0:3], s[0:1]
	s_waitcnt lgkmcnt(0)
	global_store_dwordx4 v10, v[4:7], s[0:1] offset:16
	s_endpgm
	.section	.rodata,"a",@progbits
	.p2align	6, 0x0
	.amdhsa_kernel _Z30warp_striped_to_blocked_kernelIxxLj1024ELj4EEvPT_PT0_
		.amdhsa_group_segment_fixed_size 8448
		.amdhsa_private_segment_fixed_size 0
		.amdhsa_kernarg_size 16
		.amdhsa_user_sgpr_count 6
		.amdhsa_user_sgpr_private_segment_buffer 1
		.amdhsa_user_sgpr_dispatch_ptr 0
		.amdhsa_user_sgpr_queue_ptr 0
		.amdhsa_user_sgpr_kernarg_segment_ptr 1
		.amdhsa_user_sgpr_dispatch_id 0
		.amdhsa_user_sgpr_flat_scratch_init 0
		.amdhsa_user_sgpr_kernarg_preload_length 0
		.amdhsa_user_sgpr_kernarg_preload_offset 0
		.amdhsa_user_sgpr_private_segment_size 0
		.amdhsa_uses_dynamic_stack 0
		.amdhsa_system_sgpr_private_segment_wavefront_offset 0
		.amdhsa_system_sgpr_workgroup_id_x 1
		.amdhsa_system_sgpr_workgroup_id_y 0
		.amdhsa_system_sgpr_workgroup_id_z 0
		.amdhsa_system_sgpr_workgroup_info 0
		.amdhsa_system_vgpr_workitem_id 0
		.amdhsa_next_free_vgpr 18
		.amdhsa_next_free_sgpr 7
		.amdhsa_accum_offset 20
		.amdhsa_reserve_vcc 0
		.amdhsa_reserve_flat_scratch 0
		.amdhsa_float_round_mode_32 0
		.amdhsa_float_round_mode_16_64 0
		.amdhsa_float_denorm_mode_32 3
		.amdhsa_float_denorm_mode_16_64 3
		.amdhsa_dx10_clamp 1
		.amdhsa_ieee_mode 1
		.amdhsa_fp16_overflow 0
		.amdhsa_tg_split 0
		.amdhsa_exception_fp_ieee_invalid_op 0
		.amdhsa_exception_fp_denorm_src 0
		.amdhsa_exception_fp_ieee_div_zero 0
		.amdhsa_exception_fp_ieee_overflow 0
		.amdhsa_exception_fp_ieee_underflow 0
		.amdhsa_exception_fp_ieee_inexact 0
		.amdhsa_exception_int_div_zero 0
	.end_amdhsa_kernel
	.section	.text._Z30warp_striped_to_blocked_kernelIxxLj1024ELj4EEvPT_PT0_,"axG",@progbits,_Z30warp_striped_to_blocked_kernelIxxLj1024ELj4EEvPT_PT0_,comdat
.Lfunc_end66:
	.size	_Z30warp_striped_to_blocked_kernelIxxLj1024ELj4EEvPT_PT0_, .Lfunc_end66-_Z30warp_striped_to_blocked_kernelIxxLj1024ELj4EEvPT_PT0_
                                        ; -- End function
	.section	.AMDGPU.csdata,"",@progbits
; Kernel info:
; codeLenInByte = 276
; NumSgprs: 11
; NumVgprs: 18
; NumAgprs: 0
; TotalNumVgprs: 18
; ScratchSize: 0
; MemoryBound: 0
; FloatMode: 240
; IeeeMode: 1
; LDSByteSize: 8448 bytes/workgroup (compile time only)
; SGPRBlocks: 1
; VGPRBlocks: 2
; NumSGPRsForWavesPerEU: 11
; NumVGPRsForWavesPerEU: 18
; AccumOffset: 20
; Occupancy: 8
; WaveLimiterHint : 0
; COMPUTE_PGM_RSRC2:SCRATCH_EN: 0
; COMPUTE_PGM_RSRC2:USER_SGPR: 6
; COMPUTE_PGM_RSRC2:TRAP_HANDLER: 0
; COMPUTE_PGM_RSRC2:TGID_X_EN: 1
; COMPUTE_PGM_RSRC2:TGID_Y_EN: 0
; COMPUTE_PGM_RSRC2:TGID_Z_EN: 0
; COMPUTE_PGM_RSRC2:TIDIG_COMP_CNT: 0
; COMPUTE_PGM_RSRC3_GFX90A:ACCUM_OFFSET: 4
; COMPUTE_PGM_RSRC3_GFX90A:TG_SPLIT: 0
	.section	.text._Z30warp_striped_to_blocked_kernelIiiLj128ELj2EEvPT_PT0_,"axG",@progbits,_Z30warp_striped_to_blocked_kernelIiiLj128ELj2EEvPT_PT0_,comdat
	.protected	_Z30warp_striped_to_blocked_kernelIiiLj128ELj2EEvPT_PT0_ ; -- Begin function _Z30warp_striped_to_blocked_kernelIiiLj128ELj2EEvPT_PT0_
	.globl	_Z30warp_striped_to_blocked_kernelIiiLj128ELj2EEvPT_PT0_
	.p2align	8
	.type	_Z30warp_striped_to_blocked_kernelIiiLj128ELj2EEvPT_PT0_,@function
_Z30warp_striped_to_blocked_kernelIiiLj128ELj2EEvPT_PT0_: ; @_Z30warp_striped_to_blocked_kernelIiiLj128ELj2EEvPT_PT0_
; %bb.0:
	s_load_dwordx4 s[0:3], s[4:5], 0x0
	s_lshl_b32 s4, s6, 7
	s_mov_b32 s5, 0
	s_lshl_b64 s[4:5], s[4:5], 2
	v_lshlrev_b32_e32 v4, 3, v0
	s_waitcnt lgkmcnt(0)
	s_add_u32 s0, s0, s4
	s_addc_u32 s1, s1, s5
	global_load_dwordx2 v[2:3], v4, s[0:1]
	v_mbcnt_lo_u32_b32 v1, -1, 0
	s_movk_i32 s0, 0x380
	v_lshlrev_b32_e32 v5, 1, v0
	v_mbcnt_hi_u32_b32 v1, -1, v1
	v_and_b32_e32 v0, 0x1c0, v0
	v_and_or_b32 v5, v5, s0, v1
	v_add_u32_e32 v0, v1, v0
	v_lshrrev_b32_e32 v1, 5, v5
	v_add_u32_e32 v6, 64, v5
	v_lshlrev_b32_e32 v7, 1, v0
	v_bfe_u32 v0, v0, 4, 27
	v_add_lshl_u32 v1, v1, v5, 2
	v_lshrrev_b32_e32 v5, 5, v6
	v_add_lshl_u32 v0, v0, v7, 2
	v_add_lshl_u32 v5, v5, v6, 2
	s_add_u32 s0, s2, s4
	s_addc_u32 s1, s3, s5
	s_waitcnt vmcnt(0)
	ds_write_b32 v1, v2
	ds_write_b32 v5, v3
	; wave barrier
	ds_read2_b32 v[0:1], v0 offset1:1
	s_waitcnt lgkmcnt(0)
	global_store_dwordx2 v4, v[0:1], s[0:1]
	s_endpgm
	.section	.rodata,"a",@progbits
	.p2align	6, 0x0
	.amdhsa_kernel _Z30warp_striped_to_blocked_kernelIiiLj128ELj2EEvPT_PT0_
		.amdhsa_group_segment_fixed_size 528
		.amdhsa_private_segment_fixed_size 0
		.amdhsa_kernarg_size 16
		.amdhsa_user_sgpr_count 6
		.amdhsa_user_sgpr_private_segment_buffer 1
		.amdhsa_user_sgpr_dispatch_ptr 0
		.amdhsa_user_sgpr_queue_ptr 0
		.amdhsa_user_sgpr_kernarg_segment_ptr 1
		.amdhsa_user_sgpr_dispatch_id 0
		.amdhsa_user_sgpr_flat_scratch_init 0
		.amdhsa_user_sgpr_kernarg_preload_length 0
		.amdhsa_user_sgpr_kernarg_preload_offset 0
		.amdhsa_user_sgpr_private_segment_size 0
		.amdhsa_uses_dynamic_stack 0
		.amdhsa_system_sgpr_private_segment_wavefront_offset 0
		.amdhsa_system_sgpr_workgroup_id_x 1
		.amdhsa_system_sgpr_workgroup_id_y 0
		.amdhsa_system_sgpr_workgroup_id_z 0
		.amdhsa_system_sgpr_workgroup_info 0
		.amdhsa_system_vgpr_workitem_id 0
		.amdhsa_next_free_vgpr 8
		.amdhsa_next_free_sgpr 7
		.amdhsa_accum_offset 8
		.amdhsa_reserve_vcc 0
		.amdhsa_reserve_flat_scratch 0
		.amdhsa_float_round_mode_32 0
		.amdhsa_float_round_mode_16_64 0
		.amdhsa_float_denorm_mode_32 3
		.amdhsa_float_denorm_mode_16_64 3
		.amdhsa_dx10_clamp 1
		.amdhsa_ieee_mode 1
		.amdhsa_fp16_overflow 0
		.amdhsa_tg_split 0
		.amdhsa_exception_fp_ieee_invalid_op 0
		.amdhsa_exception_fp_denorm_src 0
		.amdhsa_exception_fp_ieee_div_zero 0
		.amdhsa_exception_fp_ieee_overflow 0
		.amdhsa_exception_fp_ieee_underflow 0
		.amdhsa_exception_fp_ieee_inexact 0
		.amdhsa_exception_int_div_zero 0
	.end_amdhsa_kernel
	.section	.text._Z30warp_striped_to_blocked_kernelIiiLj128ELj2EEvPT_PT0_,"axG",@progbits,_Z30warp_striped_to_blocked_kernelIiiLj128ELj2EEvPT_PT0_,comdat
.Lfunc_end67:
	.size	_Z30warp_striped_to_blocked_kernelIiiLj128ELj2EEvPT_PT0_, .Lfunc_end67-_Z30warp_striped_to_blocked_kernelIiiLj128ELj2EEvPT_PT0_
                                        ; -- End function
	.section	.AMDGPU.csdata,"",@progbits
; Kernel info:
; codeLenInByte = 188
; NumSgprs: 11
; NumVgprs: 8
; NumAgprs: 0
; TotalNumVgprs: 8
; ScratchSize: 0
; MemoryBound: 0
; FloatMode: 240
; IeeeMode: 1
; LDSByteSize: 528 bytes/workgroup (compile time only)
; SGPRBlocks: 1
; VGPRBlocks: 0
; NumSGPRsForWavesPerEU: 11
; NumVGPRsForWavesPerEU: 8
; AccumOffset: 8
; Occupancy: 8
; WaveLimiterHint : 0
; COMPUTE_PGM_RSRC2:SCRATCH_EN: 0
; COMPUTE_PGM_RSRC2:USER_SGPR: 6
; COMPUTE_PGM_RSRC2:TRAP_HANDLER: 0
; COMPUTE_PGM_RSRC2:TGID_X_EN: 1
; COMPUTE_PGM_RSRC2:TGID_Y_EN: 0
; COMPUTE_PGM_RSRC2:TGID_Z_EN: 0
; COMPUTE_PGM_RSRC2:TIDIG_COMP_CNT: 0
; COMPUTE_PGM_RSRC3_GFX90A:ACCUM_OFFSET: 1
; COMPUTE_PGM_RSRC3_GFX90A:TG_SPLIT: 0
	.section	.text._Z30warp_striped_to_blocked_kernelIxxLj512ELj1EEvPT_PT0_,"axG",@progbits,_Z30warp_striped_to_blocked_kernelIxxLj512ELj1EEvPT_PT0_,comdat
	.protected	_Z30warp_striped_to_blocked_kernelIxxLj512ELj1EEvPT_PT0_ ; -- Begin function _Z30warp_striped_to_blocked_kernelIxxLj512ELj1EEvPT_PT0_
	.globl	_Z30warp_striped_to_blocked_kernelIxxLj512ELj1EEvPT_PT0_
	.p2align	8
	.type	_Z30warp_striped_to_blocked_kernelIxxLj512ELj1EEvPT_PT0_,@function
_Z30warp_striped_to_blocked_kernelIxxLj512ELj1EEvPT_PT0_: ; @_Z30warp_striped_to_blocked_kernelIxxLj512ELj1EEvPT_PT0_
; %bb.0:
	s_load_dwordx4 s[0:3], s[4:5], 0x0
	s_lshl_b32 s4, s6, 9
	s_mov_b32 s5, 0
	s_lshl_b64 s[4:5], s[4:5], 3
	v_lshlrev_b32_e32 v4, 3, v0
	s_waitcnt lgkmcnt(0)
	s_add_u32 s0, s0, s4
	s_addc_u32 s1, s1, s5
	global_load_dwordx2 v[2:3], v4, s[0:1]
	v_mbcnt_lo_u32_b32 v1, -1, 0
	v_mbcnt_hi_u32_b32 v1, -1, v1
	v_and_b32_e32 v0, 0x1c0, v0
	v_add_lshl_u32 v0, v1, v0, 3
	s_add_u32 s0, s2, s4
	s_addc_u32 s1, s3, s5
	s_waitcnt vmcnt(0)
	ds_write_b64 v0, v[2:3]
	; wave barrier
	ds_read_b64 v[0:1], v0
	s_waitcnt lgkmcnt(0)
	global_store_dwordx2 v4, v[0:1], s[0:1]
	s_endpgm
	.section	.rodata,"a",@progbits
	.p2align	6, 0x0
	.amdhsa_kernel _Z30warp_striped_to_blocked_kernelIxxLj512ELj1EEvPT_PT0_
		.amdhsa_group_segment_fixed_size 4096
		.amdhsa_private_segment_fixed_size 0
		.amdhsa_kernarg_size 16
		.amdhsa_user_sgpr_count 6
		.amdhsa_user_sgpr_private_segment_buffer 1
		.amdhsa_user_sgpr_dispatch_ptr 0
		.amdhsa_user_sgpr_queue_ptr 0
		.amdhsa_user_sgpr_kernarg_segment_ptr 1
		.amdhsa_user_sgpr_dispatch_id 0
		.amdhsa_user_sgpr_flat_scratch_init 0
		.amdhsa_user_sgpr_kernarg_preload_length 0
		.amdhsa_user_sgpr_kernarg_preload_offset 0
		.amdhsa_user_sgpr_private_segment_size 0
		.amdhsa_uses_dynamic_stack 0
		.amdhsa_system_sgpr_private_segment_wavefront_offset 0
		.amdhsa_system_sgpr_workgroup_id_x 1
		.amdhsa_system_sgpr_workgroup_id_y 0
		.amdhsa_system_sgpr_workgroup_id_z 0
		.amdhsa_system_sgpr_workgroup_info 0
		.amdhsa_system_vgpr_workitem_id 0
		.amdhsa_next_free_vgpr 5
		.amdhsa_next_free_sgpr 7
		.amdhsa_accum_offset 8
		.amdhsa_reserve_vcc 0
		.amdhsa_reserve_flat_scratch 0
		.amdhsa_float_round_mode_32 0
		.amdhsa_float_round_mode_16_64 0
		.amdhsa_float_denorm_mode_32 3
		.amdhsa_float_denorm_mode_16_64 3
		.amdhsa_dx10_clamp 1
		.amdhsa_ieee_mode 1
		.amdhsa_fp16_overflow 0
		.amdhsa_tg_split 0
		.amdhsa_exception_fp_ieee_invalid_op 0
		.amdhsa_exception_fp_denorm_src 0
		.amdhsa_exception_fp_ieee_div_zero 0
		.amdhsa_exception_fp_ieee_overflow 0
		.amdhsa_exception_fp_ieee_underflow 0
		.amdhsa_exception_fp_ieee_inexact 0
		.amdhsa_exception_int_div_zero 0
	.end_amdhsa_kernel
	.section	.text._Z30warp_striped_to_blocked_kernelIxxLj512ELj1EEvPT_PT0_,"axG",@progbits,_Z30warp_striped_to_blocked_kernelIxxLj512ELj1EEvPT_PT0_,comdat
.Lfunc_end68:
	.size	_Z30warp_striped_to_blocked_kernelIxxLj512ELj1EEvPT_PT0_, .Lfunc_end68-_Z30warp_striped_to_blocked_kernelIxxLj512ELj1EEvPT_PT0_
                                        ; -- End function
	.section	.AMDGPU.csdata,"",@progbits
; Kernel info:
; codeLenInByte = 120
; NumSgprs: 11
; NumVgprs: 5
; NumAgprs: 0
; TotalNumVgprs: 5
; ScratchSize: 0
; MemoryBound: 0
; FloatMode: 240
; IeeeMode: 1
; LDSByteSize: 4096 bytes/workgroup (compile time only)
; SGPRBlocks: 1
; VGPRBlocks: 0
; NumSGPRsForWavesPerEU: 11
; NumVGPRsForWavesPerEU: 5
; AccumOffset: 8
; Occupancy: 8
; WaveLimiterHint : 0
; COMPUTE_PGM_RSRC2:SCRATCH_EN: 0
; COMPUTE_PGM_RSRC2:USER_SGPR: 6
; COMPUTE_PGM_RSRC2:TRAP_HANDLER: 0
; COMPUTE_PGM_RSRC2:TGID_X_EN: 1
; COMPUTE_PGM_RSRC2:TGID_Y_EN: 0
; COMPUTE_PGM_RSRC2:TGID_Z_EN: 0
; COMPUTE_PGM_RSRC2:TIDIG_COMP_CNT: 0
; COMPUTE_PGM_RSRC3_GFX90A:ACCUM_OFFSET: 1
; COMPUTE_PGM_RSRC3_GFX90A:TG_SPLIT: 0
	.section	.text._Z30warp_striped_to_blocked_kernelIs5dummyIiELj256ELj1EEvPT_PT0_,"axG",@progbits,_Z30warp_striped_to_blocked_kernelIs5dummyIiELj256ELj1EEvPT_PT0_,comdat
	.protected	_Z30warp_striped_to_blocked_kernelIs5dummyIiELj256ELj1EEvPT_PT0_ ; -- Begin function _Z30warp_striped_to_blocked_kernelIs5dummyIiELj256ELj1EEvPT_PT0_
	.globl	_Z30warp_striped_to_blocked_kernelIs5dummyIiELj256ELj1EEvPT_PT0_
	.p2align	8
	.type	_Z30warp_striped_to_blocked_kernelIs5dummyIiELj256ELj1EEvPT_PT0_,@function
_Z30warp_striped_to_blocked_kernelIs5dummyIiELj256ELj1EEvPT_PT0_: ; @_Z30warp_striped_to_blocked_kernelIs5dummyIiELj256ELj1EEvPT_PT0_
; %bb.0:
	s_load_dwordx4 s[0:3], s[4:5], 0x0
	s_lshl_b32 s4, s6, 8
	s_mov_b32 s5, 0
	s_lshl_b64 s[6:7], s[4:5], 1
	v_lshlrev_b32_e32 v1, 1, v0
	s_waitcnt lgkmcnt(0)
	s_add_u32 s0, s0, s6
	s_addc_u32 s1, s1, s7
	global_load_ushort v1, v1, s[0:1]
	v_mbcnt_lo_u32_b32 v2, -1, 0
	v_mbcnt_hi_u32_b32 v2, -1, v2
	v_and_b32_e32 v3, 0x1c0, v0
	v_add_lshl_u32 v2, v2, v3, 1
	s_lshl_b64 s[0:1], s[4:5], 3
	s_add_u32 s0, s2, s0
	s_addc_u32 s1, s3, s1
	v_lshlrev_b32_e32 v0, 3, v0
	s_waitcnt vmcnt(0)
	ds_write_b16 v2, v1
	; wave barrier
	ds_read_i16 v1, v2
	s_waitcnt lgkmcnt(0)
	v_lshlrev_b32_e32 v3, 1, v1
	v_add_u32_e32 v2, 1, v1
	global_store_dwordx2 v0, v[2:3], s[0:1]
	s_endpgm
	.section	.rodata,"a",@progbits
	.p2align	6, 0x0
	.amdhsa_kernel _Z30warp_striped_to_blocked_kernelIs5dummyIiELj256ELj1EEvPT_PT0_
		.amdhsa_group_segment_fixed_size 512
		.amdhsa_private_segment_fixed_size 0
		.amdhsa_kernarg_size 16
		.amdhsa_user_sgpr_count 6
		.amdhsa_user_sgpr_private_segment_buffer 1
		.amdhsa_user_sgpr_dispatch_ptr 0
		.amdhsa_user_sgpr_queue_ptr 0
		.amdhsa_user_sgpr_kernarg_segment_ptr 1
		.amdhsa_user_sgpr_dispatch_id 0
		.amdhsa_user_sgpr_flat_scratch_init 0
		.amdhsa_user_sgpr_kernarg_preload_length 0
		.amdhsa_user_sgpr_kernarg_preload_offset 0
		.amdhsa_user_sgpr_private_segment_size 0
		.amdhsa_uses_dynamic_stack 0
		.amdhsa_system_sgpr_private_segment_wavefront_offset 0
		.amdhsa_system_sgpr_workgroup_id_x 1
		.amdhsa_system_sgpr_workgroup_id_y 0
		.amdhsa_system_sgpr_workgroup_id_z 0
		.amdhsa_system_sgpr_workgroup_info 0
		.amdhsa_system_vgpr_workitem_id 0
		.amdhsa_next_free_vgpr 4
		.amdhsa_next_free_sgpr 8
		.amdhsa_accum_offset 4
		.amdhsa_reserve_vcc 0
		.amdhsa_reserve_flat_scratch 0
		.amdhsa_float_round_mode_32 0
		.amdhsa_float_round_mode_16_64 0
		.amdhsa_float_denorm_mode_32 3
		.amdhsa_float_denorm_mode_16_64 3
		.amdhsa_dx10_clamp 1
		.amdhsa_ieee_mode 1
		.amdhsa_fp16_overflow 0
		.amdhsa_tg_split 0
		.amdhsa_exception_fp_ieee_invalid_op 0
		.amdhsa_exception_fp_denorm_src 0
		.amdhsa_exception_fp_ieee_div_zero 0
		.amdhsa_exception_fp_ieee_overflow 0
		.amdhsa_exception_fp_ieee_underflow 0
		.amdhsa_exception_fp_ieee_inexact 0
		.amdhsa_exception_int_div_zero 0
	.end_amdhsa_kernel
	.section	.text._Z30warp_striped_to_blocked_kernelIs5dummyIiELj256ELj1EEvPT_PT0_,"axG",@progbits,_Z30warp_striped_to_blocked_kernelIs5dummyIiELj256ELj1EEvPT_PT0_,comdat
.Lfunc_end69:
	.size	_Z30warp_striped_to_blocked_kernelIs5dummyIiELj256ELj1EEvPT_PT0_, .Lfunc_end69-_Z30warp_striped_to_blocked_kernelIs5dummyIiELj256ELj1EEvPT_PT0_
                                        ; -- End function
	.section	.AMDGPU.csdata,"",@progbits
; Kernel info:
; codeLenInByte = 136
; NumSgprs: 12
; NumVgprs: 4
; NumAgprs: 0
; TotalNumVgprs: 4
; ScratchSize: 0
; MemoryBound: 0
; FloatMode: 240
; IeeeMode: 1
; LDSByteSize: 512 bytes/workgroup (compile time only)
; SGPRBlocks: 1
; VGPRBlocks: 0
; NumSGPRsForWavesPerEU: 12
; NumVGPRsForWavesPerEU: 4
; AccumOffset: 4
; Occupancy: 8
; WaveLimiterHint : 0
; COMPUTE_PGM_RSRC2:SCRATCH_EN: 0
; COMPUTE_PGM_RSRC2:USER_SGPR: 6
; COMPUTE_PGM_RSRC2:TRAP_HANDLER: 0
; COMPUTE_PGM_RSRC2:TGID_X_EN: 1
; COMPUTE_PGM_RSRC2:TGID_Y_EN: 0
; COMPUTE_PGM_RSRC2:TGID_Z_EN: 0
; COMPUTE_PGM_RSRC2:TIDIG_COMP_CNT: 0
; COMPUTE_PGM_RSRC3_GFX90A:ACCUM_OFFSET: 0
; COMPUTE_PGM_RSRC3_GFX90A:TG_SPLIT: 0
	.section	.text._Z30warp_striped_to_blocked_kernelIyyLj128ELj1EEvPT_PT0_,"axG",@progbits,_Z30warp_striped_to_blocked_kernelIyyLj128ELj1EEvPT_PT0_,comdat
	.protected	_Z30warp_striped_to_blocked_kernelIyyLj128ELj1EEvPT_PT0_ ; -- Begin function _Z30warp_striped_to_blocked_kernelIyyLj128ELj1EEvPT_PT0_
	.globl	_Z30warp_striped_to_blocked_kernelIyyLj128ELj1EEvPT_PT0_
	.p2align	8
	.type	_Z30warp_striped_to_blocked_kernelIyyLj128ELj1EEvPT_PT0_,@function
_Z30warp_striped_to_blocked_kernelIyyLj128ELj1EEvPT_PT0_: ; @_Z30warp_striped_to_blocked_kernelIyyLj128ELj1EEvPT_PT0_
; %bb.0:
	s_load_dwordx4 s[0:3], s[4:5], 0x0
	s_lshl_b32 s4, s6, 7
	s_mov_b32 s5, 0
	s_lshl_b64 s[4:5], s[4:5], 3
	v_lshlrev_b32_e32 v4, 3, v0
	s_waitcnt lgkmcnt(0)
	s_add_u32 s0, s0, s4
	s_addc_u32 s1, s1, s5
	global_load_dwordx2 v[2:3], v4, s[0:1]
	v_mbcnt_lo_u32_b32 v1, -1, 0
	v_mbcnt_hi_u32_b32 v1, -1, v1
	v_and_b32_e32 v0, 0x1c0, v0
	v_add_lshl_u32 v0, v1, v0, 3
	s_add_u32 s0, s2, s4
	s_addc_u32 s1, s3, s5
	s_waitcnt vmcnt(0)
	ds_write_b64 v0, v[2:3]
	; wave barrier
	ds_read_b64 v[0:1], v0
	s_waitcnt lgkmcnt(0)
	global_store_dwordx2 v4, v[0:1], s[0:1]
	s_endpgm
	.section	.rodata,"a",@progbits
	.p2align	6, 0x0
	.amdhsa_kernel _Z30warp_striped_to_blocked_kernelIyyLj128ELj1EEvPT_PT0_
		.amdhsa_group_segment_fixed_size 1024
		.amdhsa_private_segment_fixed_size 0
		.amdhsa_kernarg_size 16
		.amdhsa_user_sgpr_count 6
		.amdhsa_user_sgpr_private_segment_buffer 1
		.amdhsa_user_sgpr_dispatch_ptr 0
		.amdhsa_user_sgpr_queue_ptr 0
		.amdhsa_user_sgpr_kernarg_segment_ptr 1
		.amdhsa_user_sgpr_dispatch_id 0
		.amdhsa_user_sgpr_flat_scratch_init 0
		.amdhsa_user_sgpr_kernarg_preload_length 0
		.amdhsa_user_sgpr_kernarg_preload_offset 0
		.amdhsa_user_sgpr_private_segment_size 0
		.amdhsa_uses_dynamic_stack 0
		.amdhsa_system_sgpr_private_segment_wavefront_offset 0
		.amdhsa_system_sgpr_workgroup_id_x 1
		.amdhsa_system_sgpr_workgroup_id_y 0
		.amdhsa_system_sgpr_workgroup_id_z 0
		.amdhsa_system_sgpr_workgroup_info 0
		.amdhsa_system_vgpr_workitem_id 0
		.amdhsa_next_free_vgpr 5
		.amdhsa_next_free_sgpr 7
		.amdhsa_accum_offset 8
		.amdhsa_reserve_vcc 0
		.amdhsa_reserve_flat_scratch 0
		.amdhsa_float_round_mode_32 0
		.amdhsa_float_round_mode_16_64 0
		.amdhsa_float_denorm_mode_32 3
		.amdhsa_float_denorm_mode_16_64 3
		.amdhsa_dx10_clamp 1
		.amdhsa_ieee_mode 1
		.amdhsa_fp16_overflow 0
		.amdhsa_tg_split 0
		.amdhsa_exception_fp_ieee_invalid_op 0
		.amdhsa_exception_fp_denorm_src 0
		.amdhsa_exception_fp_ieee_div_zero 0
		.amdhsa_exception_fp_ieee_overflow 0
		.amdhsa_exception_fp_ieee_underflow 0
		.amdhsa_exception_fp_ieee_inexact 0
		.amdhsa_exception_int_div_zero 0
	.end_amdhsa_kernel
	.section	.text._Z30warp_striped_to_blocked_kernelIyyLj128ELj1EEvPT_PT0_,"axG",@progbits,_Z30warp_striped_to_blocked_kernelIyyLj128ELj1EEvPT_PT0_,comdat
.Lfunc_end70:
	.size	_Z30warp_striped_to_blocked_kernelIyyLj128ELj1EEvPT_PT0_, .Lfunc_end70-_Z30warp_striped_to_blocked_kernelIyyLj128ELj1EEvPT_PT0_
                                        ; -- End function
	.section	.AMDGPU.csdata,"",@progbits
; Kernel info:
; codeLenInByte = 120
; NumSgprs: 11
; NumVgprs: 5
; NumAgprs: 0
; TotalNumVgprs: 5
; ScratchSize: 0
; MemoryBound: 0
; FloatMode: 240
; IeeeMode: 1
; LDSByteSize: 1024 bytes/workgroup (compile time only)
; SGPRBlocks: 1
; VGPRBlocks: 0
; NumSGPRsForWavesPerEU: 11
; NumVGPRsForWavesPerEU: 5
; AccumOffset: 8
; Occupancy: 8
; WaveLimiterHint : 0
; COMPUTE_PGM_RSRC2:SCRATCH_EN: 0
; COMPUTE_PGM_RSRC2:USER_SGPR: 6
; COMPUTE_PGM_RSRC2:TRAP_HANDLER: 0
; COMPUTE_PGM_RSRC2:TGID_X_EN: 1
; COMPUTE_PGM_RSRC2:TGID_Y_EN: 0
; COMPUTE_PGM_RSRC2:TGID_Z_EN: 0
; COMPUTE_PGM_RSRC2:TIDIG_COMP_CNT: 0
; COMPUTE_PGM_RSRC3_GFX90A:ACCUM_OFFSET: 1
; COMPUTE_PGM_RSRC3_GFX90A:TG_SPLIT: 0
	.section	.text._Z30warp_striped_to_blocked_kernelIixLj64ELj1EEvPT_PT0_,"axG",@progbits,_Z30warp_striped_to_blocked_kernelIixLj64ELj1EEvPT_PT0_,comdat
	.protected	_Z30warp_striped_to_blocked_kernelIixLj64ELj1EEvPT_PT0_ ; -- Begin function _Z30warp_striped_to_blocked_kernelIixLj64ELj1EEvPT_PT0_
	.globl	_Z30warp_striped_to_blocked_kernelIixLj64ELj1EEvPT_PT0_
	.p2align	8
	.type	_Z30warp_striped_to_blocked_kernelIixLj64ELj1EEvPT_PT0_,@function
_Z30warp_striped_to_blocked_kernelIixLj64ELj1EEvPT_PT0_: ; @_Z30warp_striped_to_blocked_kernelIixLj64ELj1EEvPT_PT0_
; %bb.0:
	s_load_dwordx4 s[0:3], s[4:5], 0x0
	s_lshl_b32 s4, s6, 6
	s_mov_b32 s5, 0
	s_lshl_b64 s[6:7], s[4:5], 2
	v_lshlrev_b32_e32 v1, 2, v0
	s_waitcnt lgkmcnt(0)
	s_add_u32 s0, s0, s6
	s_addc_u32 s1, s1, s7
	global_load_dword v1, v1, s[0:1]
	v_mbcnt_lo_u32_b32 v2, -1, 0
	v_mbcnt_hi_u32_b32 v2, -1, v2
	v_and_b32_e32 v3, 0x1c0, v0
	v_add_lshl_u32 v2, v2, v3, 2
	s_lshl_b64 s[0:1], s[4:5], 3
	s_add_u32 s0, s2, s0
	s_addc_u32 s1, s3, s1
	v_lshlrev_b32_e32 v0, 3, v0
	s_waitcnt vmcnt(0)
	ds_write_b32 v2, v1
	; wave barrier
	ds_read_b32 v2, v2
	s_waitcnt lgkmcnt(0)
	v_ashrrev_i32_e32 v3, 31, v2
	global_store_dwordx2 v0, v[2:3], s[0:1]
	s_endpgm
	.section	.rodata,"a",@progbits
	.p2align	6, 0x0
	.amdhsa_kernel _Z30warp_striped_to_blocked_kernelIixLj64ELj1EEvPT_PT0_
		.amdhsa_group_segment_fixed_size 256
		.amdhsa_private_segment_fixed_size 0
		.amdhsa_kernarg_size 16
		.amdhsa_user_sgpr_count 6
		.amdhsa_user_sgpr_private_segment_buffer 1
		.amdhsa_user_sgpr_dispatch_ptr 0
		.amdhsa_user_sgpr_queue_ptr 0
		.amdhsa_user_sgpr_kernarg_segment_ptr 1
		.amdhsa_user_sgpr_dispatch_id 0
		.amdhsa_user_sgpr_flat_scratch_init 0
		.amdhsa_user_sgpr_kernarg_preload_length 0
		.amdhsa_user_sgpr_kernarg_preload_offset 0
		.amdhsa_user_sgpr_private_segment_size 0
		.amdhsa_uses_dynamic_stack 0
		.amdhsa_system_sgpr_private_segment_wavefront_offset 0
		.amdhsa_system_sgpr_workgroup_id_x 1
		.amdhsa_system_sgpr_workgroup_id_y 0
		.amdhsa_system_sgpr_workgroup_id_z 0
		.amdhsa_system_sgpr_workgroup_info 0
		.amdhsa_system_vgpr_workitem_id 0
		.amdhsa_next_free_vgpr 4
		.amdhsa_next_free_sgpr 8
		.amdhsa_accum_offset 4
		.amdhsa_reserve_vcc 0
		.amdhsa_reserve_flat_scratch 0
		.amdhsa_float_round_mode_32 0
		.amdhsa_float_round_mode_16_64 0
		.amdhsa_float_denorm_mode_32 3
		.amdhsa_float_denorm_mode_16_64 3
		.amdhsa_dx10_clamp 1
		.amdhsa_ieee_mode 1
		.amdhsa_fp16_overflow 0
		.amdhsa_tg_split 0
		.amdhsa_exception_fp_ieee_invalid_op 0
		.amdhsa_exception_fp_denorm_src 0
		.amdhsa_exception_fp_ieee_div_zero 0
		.amdhsa_exception_fp_ieee_overflow 0
		.amdhsa_exception_fp_ieee_underflow 0
		.amdhsa_exception_fp_ieee_inexact 0
		.amdhsa_exception_int_div_zero 0
	.end_amdhsa_kernel
	.section	.text._Z30warp_striped_to_blocked_kernelIixLj64ELj1EEvPT_PT0_,"axG",@progbits,_Z30warp_striped_to_blocked_kernelIixLj64ELj1EEvPT_PT0_,comdat
.Lfunc_end71:
	.size	_Z30warp_striped_to_blocked_kernelIixLj64ELj1EEvPT_PT0_, .Lfunc_end71-_Z30warp_striped_to_blocked_kernelIixLj64ELj1EEvPT_PT0_
                                        ; -- End function
	.section	.AMDGPU.csdata,"",@progbits
; Kernel info:
; codeLenInByte = 132
; NumSgprs: 12
; NumVgprs: 4
; NumAgprs: 0
; TotalNumVgprs: 4
; ScratchSize: 0
; MemoryBound: 0
; FloatMode: 240
; IeeeMode: 1
; LDSByteSize: 256 bytes/workgroup (compile time only)
; SGPRBlocks: 1
; VGPRBlocks: 0
; NumSGPRsForWavesPerEU: 12
; NumVGPRsForWavesPerEU: 4
; AccumOffset: 4
; Occupancy: 8
; WaveLimiterHint : 0
; COMPUTE_PGM_RSRC2:SCRATCH_EN: 0
; COMPUTE_PGM_RSRC2:USER_SGPR: 6
; COMPUTE_PGM_RSRC2:TRAP_HANDLER: 0
; COMPUTE_PGM_RSRC2:TGID_X_EN: 1
; COMPUTE_PGM_RSRC2:TGID_Y_EN: 0
; COMPUTE_PGM_RSRC2:TGID_Z_EN: 0
; COMPUTE_PGM_RSRC2:TIDIG_COMP_CNT: 0
; COMPUTE_PGM_RSRC3_GFX90A:ACCUM_OFFSET: 0
; COMPUTE_PGM_RSRC3_GFX90A:TG_SPLIT: 0
	.section	.text._Z30warp_striped_to_blocked_kernelI6__halfS0_Lj512ELj4EEvPT_PT0_,"axG",@progbits,_Z30warp_striped_to_blocked_kernelI6__halfS0_Lj512ELj4EEvPT_PT0_,comdat
	.protected	_Z30warp_striped_to_blocked_kernelI6__halfS0_Lj512ELj4EEvPT_PT0_ ; -- Begin function _Z30warp_striped_to_blocked_kernelI6__halfS0_Lj512ELj4EEvPT_PT0_
	.globl	_Z30warp_striped_to_blocked_kernelI6__halfS0_Lj512ELj4EEvPT_PT0_
	.p2align	8
	.type	_Z30warp_striped_to_blocked_kernelI6__halfS0_Lj512ELj4EEvPT_PT0_,@function
_Z30warp_striped_to_blocked_kernelI6__halfS0_Lj512ELj4EEvPT_PT0_: ; @_Z30warp_striped_to_blocked_kernelI6__halfS0_Lj512ELj4EEvPT_PT0_
; %bb.0:
	s_load_dwordx4 s[0:3], s[4:5], 0x0
	s_lshl_b32 s4, s6, 9
	s_mov_b32 s5, 0
	s_lshl_b64 s[4:5], s[4:5], 1
	v_lshlrev_b32_e32 v4, 3, v0
	s_waitcnt lgkmcnt(0)
	s_add_u32 s0, s0, s4
	s_addc_u32 s1, s1, s5
	global_load_dwordx2 v[2:3], v4, s[0:1]
	v_mbcnt_lo_u32_b32 v1, -1, 0
	s_movk_i32 s0, 0x700
	v_lshlrev_b32_e32 v5, 2, v0
	v_mbcnt_hi_u32_b32 v1, -1, v1
	v_and_b32_e32 v0, 0x1c0, v0
	v_and_or_b32 v5, v5, s0, v1
	v_add_u32_e32 v0, v1, v0
	v_lshrrev_b32_e32 v1, 5, v5
	v_add_u32_e32 v6, 64, v5
	v_or_b32_e32 v7, 0x80, v5
	v_add_u32_e32 v8, 0xc0, v5
	v_lshlrev_b32_e32 v9, 2, v0
	v_lshrrev_b32_e32 v0, 3, v0
	v_and_b32_e32 v1, 58, v1
	v_lshrrev_b32_e32 v10, 5, v6
	v_lshrrev_b32_e32 v11, 5, v7
	;; [unrolled: 1-line block ×3, first 2 shown]
	v_and_b32_e32 v0, 0x7e, v0
	v_add_lshl_u32 v1, v1, v5, 1
	v_and_b32_e32 v5, 62, v10
	v_and_b32_e32 v10, 62, v11
	;; [unrolled: 1-line block ×3, first 2 shown]
	v_add_lshl_u32 v0, v0, v9, 1
	v_add_lshl_u32 v5, v5, v6, 1
	v_add_lshl_u32 v6, v10, v7, 1
	v_add_lshl_u32 v7, v11, v8, 1
	s_add_u32 s0, s2, s4
	s_addc_u32 s1, s3, s5
	s_waitcnt vmcnt(0)
	ds_write_b16 v1, v2
	ds_write_b16_d16_hi v5, v2
	ds_write_b16 v6, v3
	ds_write_b16_d16_hi v7, v3
	; wave barrier
	ds_read_b64 v[0:1], v0
	s_waitcnt lgkmcnt(0)
	global_store_dwordx2 v4, v[0:1], s[0:1]
	s_endpgm
	.section	.rodata,"a",@progbits
	.p2align	6, 0x0
	.amdhsa_kernel _Z30warp_striped_to_blocked_kernelI6__halfS0_Lj512ELj4EEvPT_PT0_
		.amdhsa_group_segment_fixed_size 1056
		.amdhsa_private_segment_fixed_size 0
		.amdhsa_kernarg_size 16
		.amdhsa_user_sgpr_count 6
		.amdhsa_user_sgpr_private_segment_buffer 1
		.amdhsa_user_sgpr_dispatch_ptr 0
		.amdhsa_user_sgpr_queue_ptr 0
		.amdhsa_user_sgpr_kernarg_segment_ptr 1
		.amdhsa_user_sgpr_dispatch_id 0
		.amdhsa_user_sgpr_flat_scratch_init 0
		.amdhsa_user_sgpr_kernarg_preload_length 0
		.amdhsa_user_sgpr_kernarg_preload_offset 0
		.amdhsa_user_sgpr_private_segment_size 0
		.amdhsa_uses_dynamic_stack 0
		.amdhsa_system_sgpr_private_segment_wavefront_offset 0
		.amdhsa_system_sgpr_workgroup_id_x 1
		.amdhsa_system_sgpr_workgroup_id_y 0
		.amdhsa_system_sgpr_workgroup_id_z 0
		.amdhsa_system_sgpr_workgroup_info 0
		.amdhsa_system_vgpr_workitem_id 0
		.amdhsa_next_free_vgpr 13
		.amdhsa_next_free_sgpr 7
		.amdhsa_accum_offset 16
		.amdhsa_reserve_vcc 0
		.amdhsa_reserve_flat_scratch 0
		.amdhsa_float_round_mode_32 0
		.amdhsa_float_round_mode_16_64 0
		.amdhsa_float_denorm_mode_32 3
		.amdhsa_float_denorm_mode_16_64 3
		.amdhsa_dx10_clamp 1
		.amdhsa_ieee_mode 1
		.amdhsa_fp16_overflow 0
		.amdhsa_tg_split 0
		.amdhsa_exception_fp_ieee_invalid_op 0
		.amdhsa_exception_fp_denorm_src 0
		.amdhsa_exception_fp_ieee_div_zero 0
		.amdhsa_exception_fp_ieee_overflow 0
		.amdhsa_exception_fp_ieee_underflow 0
		.amdhsa_exception_fp_ieee_inexact 0
		.amdhsa_exception_int_div_zero 0
	.end_amdhsa_kernel
	.section	.text._Z30warp_striped_to_blocked_kernelI6__halfS0_Lj512ELj4EEvPT_PT0_,"axG",@progbits,_Z30warp_striped_to_blocked_kernelI6__halfS0_Lj512ELj4EEvPT_PT0_,comdat
.Lfunc_end72:
	.size	_Z30warp_striped_to_blocked_kernelI6__halfS0_Lj512ELj4EEvPT_PT0_, .Lfunc_end72-_Z30warp_striped_to_blocked_kernelI6__halfS0_Lj512ELj4EEvPT_PT0_
                                        ; -- End function
	.section	.AMDGPU.csdata,"",@progbits
; Kernel info:
; codeLenInByte = 268
; NumSgprs: 11
; NumVgprs: 13
; NumAgprs: 0
; TotalNumVgprs: 13
; ScratchSize: 0
; MemoryBound: 0
; FloatMode: 240
; IeeeMode: 1
; LDSByteSize: 1056 bytes/workgroup (compile time only)
; SGPRBlocks: 1
; VGPRBlocks: 1
; NumSGPRsForWavesPerEU: 11
; NumVGPRsForWavesPerEU: 13
; AccumOffset: 16
; Occupancy: 8
; WaveLimiterHint : 0
; COMPUTE_PGM_RSRC2:SCRATCH_EN: 0
; COMPUTE_PGM_RSRC2:USER_SGPR: 6
; COMPUTE_PGM_RSRC2:TRAP_HANDLER: 0
; COMPUTE_PGM_RSRC2:TGID_X_EN: 1
; COMPUTE_PGM_RSRC2:TGID_Y_EN: 0
; COMPUTE_PGM_RSRC2:TGID_Z_EN: 0
; COMPUTE_PGM_RSRC2:TIDIG_COMP_CNT: 0
; COMPUTE_PGM_RSRC3_GFX90A:ACCUM_OFFSET: 3
; COMPUTE_PGM_RSRC3_GFX90A:TG_SPLIT: 0
	.section	.text._Z30warp_striped_to_blocked_kernelI12hip_bfloat16S0_Lj512ELj4EEvPT_PT0_,"axG",@progbits,_Z30warp_striped_to_blocked_kernelI12hip_bfloat16S0_Lj512ELj4EEvPT_PT0_,comdat
	.protected	_Z30warp_striped_to_blocked_kernelI12hip_bfloat16S0_Lj512ELj4EEvPT_PT0_ ; -- Begin function _Z30warp_striped_to_blocked_kernelI12hip_bfloat16S0_Lj512ELj4EEvPT_PT0_
	.globl	_Z30warp_striped_to_blocked_kernelI12hip_bfloat16S0_Lj512ELj4EEvPT_PT0_
	.p2align	8
	.type	_Z30warp_striped_to_blocked_kernelI12hip_bfloat16S0_Lj512ELj4EEvPT_PT0_,@function
_Z30warp_striped_to_blocked_kernelI12hip_bfloat16S0_Lj512ELj4EEvPT_PT0_: ; @_Z30warp_striped_to_blocked_kernelI12hip_bfloat16S0_Lj512ELj4EEvPT_PT0_
; %bb.0:
	s_load_dwordx4 s[0:3], s[4:5], 0x0
	s_lshl_b32 s4, s6, 9
	s_mov_b32 s5, 0
	s_lshl_b64 s[4:5], s[4:5], 1
	v_lshlrev_b32_e32 v4, 3, v0
	s_waitcnt lgkmcnt(0)
	s_add_u32 s0, s0, s4
	s_addc_u32 s1, s1, s5
	global_load_dwordx2 v[2:3], v4, s[0:1]
	v_mbcnt_lo_u32_b32 v1, -1, 0
	s_movk_i32 s0, 0x700
	v_lshlrev_b32_e32 v5, 2, v0
	v_mbcnt_hi_u32_b32 v1, -1, v1
	v_and_b32_e32 v0, 0x1c0, v0
	v_and_or_b32 v5, v5, s0, v1
	v_add_u32_e32 v0, v1, v0
	v_lshrrev_b32_e32 v1, 5, v5
	v_add_u32_e32 v6, 64, v5
	v_or_b32_e32 v7, 0x80, v5
	v_add_u32_e32 v8, 0xc0, v5
	v_lshlrev_b32_e32 v9, 2, v0
	v_lshrrev_b32_e32 v0, 3, v0
	v_and_b32_e32 v1, 58, v1
	v_lshrrev_b32_e32 v10, 5, v6
	v_lshrrev_b32_e32 v11, 5, v7
	;; [unrolled: 1-line block ×3, first 2 shown]
	v_and_b32_e32 v0, 0x7e, v0
	v_add_lshl_u32 v1, v1, v5, 1
	v_and_b32_e32 v5, 62, v10
	v_and_b32_e32 v10, 62, v11
	;; [unrolled: 1-line block ×3, first 2 shown]
	v_add_lshl_u32 v0, v0, v9, 1
	v_add_lshl_u32 v5, v5, v6, 1
	;; [unrolled: 1-line block ×4, first 2 shown]
	s_add_u32 s0, s2, s4
	s_addc_u32 s1, s3, s5
	s_waitcnt vmcnt(0)
	ds_write_b16 v1, v2
	ds_write_b16_d16_hi v5, v2
	ds_write_b16 v6, v3
	ds_write_b16_d16_hi v7, v3
	; wave barrier
	ds_read_b64 v[0:1], v0
	s_waitcnt lgkmcnt(0)
	global_store_dwordx2 v4, v[0:1], s[0:1]
	s_endpgm
	.section	.rodata,"a",@progbits
	.p2align	6, 0x0
	.amdhsa_kernel _Z30warp_striped_to_blocked_kernelI12hip_bfloat16S0_Lj512ELj4EEvPT_PT0_
		.amdhsa_group_segment_fixed_size 1056
		.amdhsa_private_segment_fixed_size 0
		.amdhsa_kernarg_size 16
		.amdhsa_user_sgpr_count 6
		.amdhsa_user_sgpr_private_segment_buffer 1
		.amdhsa_user_sgpr_dispatch_ptr 0
		.amdhsa_user_sgpr_queue_ptr 0
		.amdhsa_user_sgpr_kernarg_segment_ptr 1
		.amdhsa_user_sgpr_dispatch_id 0
		.amdhsa_user_sgpr_flat_scratch_init 0
		.amdhsa_user_sgpr_kernarg_preload_length 0
		.amdhsa_user_sgpr_kernarg_preload_offset 0
		.amdhsa_user_sgpr_private_segment_size 0
		.amdhsa_uses_dynamic_stack 0
		.amdhsa_system_sgpr_private_segment_wavefront_offset 0
		.amdhsa_system_sgpr_workgroup_id_x 1
		.amdhsa_system_sgpr_workgroup_id_y 0
		.amdhsa_system_sgpr_workgroup_id_z 0
		.amdhsa_system_sgpr_workgroup_info 0
		.amdhsa_system_vgpr_workitem_id 0
		.amdhsa_next_free_vgpr 13
		.amdhsa_next_free_sgpr 7
		.amdhsa_accum_offset 16
		.amdhsa_reserve_vcc 0
		.amdhsa_reserve_flat_scratch 0
		.amdhsa_float_round_mode_32 0
		.amdhsa_float_round_mode_16_64 0
		.amdhsa_float_denorm_mode_32 3
		.amdhsa_float_denorm_mode_16_64 3
		.amdhsa_dx10_clamp 1
		.amdhsa_ieee_mode 1
		.amdhsa_fp16_overflow 0
		.amdhsa_tg_split 0
		.amdhsa_exception_fp_ieee_invalid_op 0
		.amdhsa_exception_fp_denorm_src 0
		.amdhsa_exception_fp_ieee_div_zero 0
		.amdhsa_exception_fp_ieee_overflow 0
		.amdhsa_exception_fp_ieee_underflow 0
		.amdhsa_exception_fp_ieee_inexact 0
		.amdhsa_exception_int_div_zero 0
	.end_amdhsa_kernel
	.section	.text._Z30warp_striped_to_blocked_kernelI12hip_bfloat16S0_Lj512ELj4EEvPT_PT0_,"axG",@progbits,_Z30warp_striped_to_blocked_kernelI12hip_bfloat16S0_Lj512ELj4EEvPT_PT0_,comdat
.Lfunc_end73:
	.size	_Z30warp_striped_to_blocked_kernelI12hip_bfloat16S0_Lj512ELj4EEvPT_PT0_, .Lfunc_end73-_Z30warp_striped_to_blocked_kernelI12hip_bfloat16S0_Lj512ELj4EEvPT_PT0_
                                        ; -- End function
	.section	.AMDGPU.csdata,"",@progbits
; Kernel info:
; codeLenInByte = 268
; NumSgprs: 11
; NumVgprs: 13
; NumAgprs: 0
; TotalNumVgprs: 13
; ScratchSize: 0
; MemoryBound: 0
; FloatMode: 240
; IeeeMode: 1
; LDSByteSize: 1056 bytes/workgroup (compile time only)
; SGPRBlocks: 1
; VGPRBlocks: 1
; NumSGPRsForWavesPerEU: 11
; NumVGPRsForWavesPerEU: 13
; AccumOffset: 16
; Occupancy: 8
; WaveLimiterHint : 0
; COMPUTE_PGM_RSRC2:SCRATCH_EN: 0
; COMPUTE_PGM_RSRC2:USER_SGPR: 6
; COMPUTE_PGM_RSRC2:TRAP_HANDLER: 0
; COMPUTE_PGM_RSRC2:TGID_X_EN: 1
; COMPUTE_PGM_RSRC2:TGID_Y_EN: 0
; COMPUTE_PGM_RSRC2:TGID_Z_EN: 0
; COMPUTE_PGM_RSRC2:TIDIG_COMP_CNT: 0
; COMPUTE_PGM_RSRC3_GFX90A:ACCUM_OFFSET: 3
; COMPUTE_PGM_RSRC3_GFX90A:TG_SPLIT: 0
	.section	.text._Z30warp_striped_to_blocked_kernelIfdLj512ELj4EEvPT_PT0_,"axG",@progbits,_Z30warp_striped_to_blocked_kernelIfdLj512ELj4EEvPT_PT0_,comdat
	.protected	_Z30warp_striped_to_blocked_kernelIfdLj512ELj4EEvPT_PT0_ ; -- Begin function _Z30warp_striped_to_blocked_kernelIfdLj512ELj4EEvPT_PT0_
	.globl	_Z30warp_striped_to_blocked_kernelIfdLj512ELj4EEvPT_PT0_
	.p2align	8
	.type	_Z30warp_striped_to_blocked_kernelIfdLj512ELj4EEvPT_PT0_,@function
_Z30warp_striped_to_blocked_kernelIfdLj512ELj4EEvPT_PT0_: ; @_Z30warp_striped_to_blocked_kernelIfdLj512ELj4EEvPT_PT0_
; %bb.0:
	s_load_dwordx4 s[0:3], s[4:5], 0x0
	s_lshl_b32 s4, s6, 9
	s_mov_b32 s5, 0
	s_lshl_b64 s[6:7], s[4:5], 2
	v_lshlrev_b32_e32 v1, 4, v0
	s_waitcnt lgkmcnt(0)
	s_add_u32 s0, s0, s6
	s_addc_u32 s1, s1, s7
	global_load_dwordx4 v[2:5], v1, s[0:1]
	v_mbcnt_lo_u32_b32 v1, -1, 0
	s_movk_i32 s0, 0x700
	v_lshlrev_b32_e32 v6, 2, v0
	v_mbcnt_hi_u32_b32 v1, -1, v1
	v_and_b32_e32 v7, 0x1c0, v0
	v_lshlrev_b32_e32 v8, 5, v0
	v_and_or_b32 v0, v6, s0, v1
	v_add_u32_e32 v1, v1, v7
	v_lshrrev_b32_e32 v6, 5, v0
	v_add_u32_e32 v7, 64, v0
	v_or_b32_e32 v9, 0x80, v0
	v_add_u32_e32 v10, 0xc0, v0
	v_lshlrev_b32_e32 v11, 2, v1
	v_bfe_u32 v1, v1, 3, 27
	v_add_lshl_u32 v0, v6, v0, 2
	v_lshrrev_b32_e32 v6, 5, v7
	v_lshrrev_b32_e32 v12, 5, v9
	;; [unrolled: 1-line block ×3, first 2 shown]
	v_add_lshl_u32 v1, v1, v11, 2
	v_add_lshl_u32 v6, v6, v7, 2
	;; [unrolled: 1-line block ×4, first 2 shown]
	s_lshl_b64 s[0:1], s[4:5], 3
	s_add_u32 s0, s2, s0
	s_addc_u32 s1, s3, s1
	s_waitcnt vmcnt(0)
	ds_write_b32 v0, v2
	ds_write_b32 v6, v3
	;; [unrolled: 1-line block ×4, first 2 shown]
	; wave barrier
	ds_read2_b32 v[2:3], v1 offset1:1
	ds_read2_b32 v[6:7], v1 offset0:2 offset1:3
	s_waitcnt lgkmcnt(1)
	v_cvt_f64_f32_e32 v[0:1], v2
	v_cvt_f64_f32_e32 v[2:3], v3
	s_waitcnt lgkmcnt(0)
	v_cvt_f64_f32_e32 v[4:5], v6
	v_cvt_f64_f32_e32 v[6:7], v7
	global_store_dwordx4 v8, v[0:3], s[0:1]
	global_store_dwordx4 v8, v[4:7], s[0:1] offset:16
	s_endpgm
	.section	.rodata,"a",@progbits
	.p2align	6, 0x0
	.amdhsa_kernel _Z30warp_striped_to_blocked_kernelIfdLj512ELj4EEvPT_PT0_
		.amdhsa_group_segment_fixed_size 2112
		.amdhsa_private_segment_fixed_size 0
		.amdhsa_kernarg_size 16
		.amdhsa_user_sgpr_count 6
		.amdhsa_user_sgpr_private_segment_buffer 1
		.amdhsa_user_sgpr_dispatch_ptr 0
		.amdhsa_user_sgpr_queue_ptr 0
		.amdhsa_user_sgpr_kernarg_segment_ptr 1
		.amdhsa_user_sgpr_dispatch_id 0
		.amdhsa_user_sgpr_flat_scratch_init 0
		.amdhsa_user_sgpr_kernarg_preload_length 0
		.amdhsa_user_sgpr_kernarg_preload_offset 0
		.amdhsa_user_sgpr_private_segment_size 0
		.amdhsa_uses_dynamic_stack 0
		.amdhsa_system_sgpr_private_segment_wavefront_offset 0
		.amdhsa_system_sgpr_workgroup_id_x 1
		.amdhsa_system_sgpr_workgroup_id_y 0
		.amdhsa_system_sgpr_workgroup_id_z 0
		.amdhsa_system_sgpr_workgroup_info 0
		.amdhsa_system_vgpr_workitem_id 0
		.amdhsa_next_free_vgpr 14
		.amdhsa_next_free_sgpr 8
		.amdhsa_accum_offset 16
		.amdhsa_reserve_vcc 0
		.amdhsa_reserve_flat_scratch 0
		.amdhsa_float_round_mode_32 0
		.amdhsa_float_round_mode_16_64 0
		.amdhsa_float_denorm_mode_32 3
		.amdhsa_float_denorm_mode_16_64 3
		.amdhsa_dx10_clamp 1
		.amdhsa_ieee_mode 1
		.amdhsa_fp16_overflow 0
		.amdhsa_tg_split 0
		.amdhsa_exception_fp_ieee_invalid_op 0
		.amdhsa_exception_fp_denorm_src 0
		.amdhsa_exception_fp_ieee_div_zero 0
		.amdhsa_exception_fp_ieee_overflow 0
		.amdhsa_exception_fp_ieee_underflow 0
		.amdhsa_exception_fp_ieee_inexact 0
		.amdhsa_exception_int_div_zero 0
	.end_amdhsa_kernel
	.section	.text._Z30warp_striped_to_blocked_kernelIfdLj512ELj4EEvPT_PT0_,"axG",@progbits,_Z30warp_striped_to_blocked_kernelIfdLj512ELj4EEvPT_PT0_,comdat
.Lfunc_end74:
	.size	_Z30warp_striped_to_blocked_kernelIfdLj512ELj4EEvPT_PT0_, .Lfunc_end74-_Z30warp_striped_to_blocked_kernelIfdLj512ELj4EEvPT_PT0_
                                        ; -- End function
	.section	.AMDGPU.csdata,"",@progbits
; Kernel info:
; codeLenInByte = 288
; NumSgprs: 12
; NumVgprs: 14
; NumAgprs: 0
; TotalNumVgprs: 14
; ScratchSize: 0
; MemoryBound: 0
; FloatMode: 240
; IeeeMode: 1
; LDSByteSize: 2112 bytes/workgroup (compile time only)
; SGPRBlocks: 1
; VGPRBlocks: 1
; NumSGPRsForWavesPerEU: 12
; NumVGPRsForWavesPerEU: 14
; AccumOffset: 16
; Occupancy: 8
; WaveLimiterHint : 0
; COMPUTE_PGM_RSRC2:SCRATCH_EN: 0
; COMPUTE_PGM_RSRC2:USER_SGPR: 6
; COMPUTE_PGM_RSRC2:TRAP_HANDLER: 0
; COMPUTE_PGM_RSRC2:TGID_X_EN: 1
; COMPUTE_PGM_RSRC2:TGID_Y_EN: 0
; COMPUTE_PGM_RSRC2:TGID_Z_EN: 0
; COMPUTE_PGM_RSRC2:TIDIG_COMP_CNT: 0
; COMPUTE_PGM_RSRC3_GFX90A:ACCUM_OFFSET: 3
; COMPUTE_PGM_RSRC3_GFX90A:TG_SPLIT: 0
	.section	.text._Z30warp_striped_to_blocked_kernelIiiLj512ELj4EEvPT_PT0_,"axG",@progbits,_Z30warp_striped_to_blocked_kernelIiiLj512ELj4EEvPT_PT0_,comdat
	.protected	_Z30warp_striped_to_blocked_kernelIiiLj512ELj4EEvPT_PT0_ ; -- Begin function _Z30warp_striped_to_blocked_kernelIiiLj512ELj4EEvPT_PT0_
	.globl	_Z30warp_striped_to_blocked_kernelIiiLj512ELj4EEvPT_PT0_
	.p2align	8
	.type	_Z30warp_striped_to_blocked_kernelIiiLj512ELj4EEvPT_PT0_,@function
_Z30warp_striped_to_blocked_kernelIiiLj512ELj4EEvPT_PT0_: ; @_Z30warp_striped_to_blocked_kernelIiiLj512ELj4EEvPT_PT0_
; %bb.0:
	s_load_dwordx4 s[0:3], s[4:5], 0x0
	s_lshl_b32 s4, s6, 9
	s_mov_b32 s5, 0
	s_lshl_b64 s[4:5], s[4:5], 2
	v_lshlrev_b32_e32 v6, 4, v0
	s_waitcnt lgkmcnt(0)
	s_add_u32 s0, s0, s4
	s_addc_u32 s1, s1, s5
	global_load_dwordx4 v[2:5], v6, s[0:1]
	v_mbcnt_lo_u32_b32 v1, -1, 0
	s_movk_i32 s0, 0x700
	v_lshlrev_b32_e32 v7, 2, v0
	v_mbcnt_hi_u32_b32 v1, -1, v1
	v_and_b32_e32 v0, 0x1c0, v0
	v_and_or_b32 v7, v7, s0, v1
	v_add_u32_e32 v0, v1, v0
	v_lshrrev_b32_e32 v1, 5, v7
	v_add_u32_e32 v8, 64, v7
	v_or_b32_e32 v9, 0x80, v7
	v_add_u32_e32 v10, 0xc0, v7
	v_lshlrev_b32_e32 v11, 2, v0
	v_bfe_u32 v0, v0, 3, 27
	v_add_lshl_u32 v1, v1, v7, 2
	v_lshrrev_b32_e32 v7, 5, v8
	v_lshrrev_b32_e32 v12, 5, v9
	;; [unrolled: 1-line block ×3, first 2 shown]
	v_add_lshl_u32 v11, v0, v11, 2
	v_add_lshl_u32 v0, v7, v8, 2
	;; [unrolled: 1-line block ×4, first 2 shown]
	s_add_u32 s0, s2, s4
	s_addc_u32 s1, s3, s5
	s_waitcnt vmcnt(0)
	ds_write_b32 v1, v2
	ds_write_b32 v0, v3
	;; [unrolled: 1-line block ×4, first 2 shown]
	; wave barrier
	ds_read2_b32 v[0:1], v11 offset1:1
	ds_read2_b32 v[2:3], v11 offset0:2 offset1:3
	s_waitcnt lgkmcnt(0)
	global_store_dwordx4 v6, v[0:3], s[0:1]
	s_endpgm
	.section	.rodata,"a",@progbits
	.p2align	6, 0x0
	.amdhsa_kernel _Z30warp_striped_to_blocked_kernelIiiLj512ELj4EEvPT_PT0_
		.amdhsa_group_segment_fixed_size 2112
		.amdhsa_private_segment_fixed_size 0
		.amdhsa_kernarg_size 16
		.amdhsa_user_sgpr_count 6
		.amdhsa_user_sgpr_private_segment_buffer 1
		.amdhsa_user_sgpr_dispatch_ptr 0
		.amdhsa_user_sgpr_queue_ptr 0
		.amdhsa_user_sgpr_kernarg_segment_ptr 1
		.amdhsa_user_sgpr_dispatch_id 0
		.amdhsa_user_sgpr_flat_scratch_init 0
		.amdhsa_user_sgpr_kernarg_preload_length 0
		.amdhsa_user_sgpr_kernarg_preload_offset 0
		.amdhsa_user_sgpr_private_segment_size 0
		.amdhsa_uses_dynamic_stack 0
		.amdhsa_system_sgpr_private_segment_wavefront_offset 0
		.amdhsa_system_sgpr_workgroup_id_x 1
		.amdhsa_system_sgpr_workgroup_id_y 0
		.amdhsa_system_sgpr_workgroup_id_z 0
		.amdhsa_system_sgpr_workgroup_info 0
		.amdhsa_system_vgpr_workitem_id 0
		.amdhsa_next_free_vgpr 14
		.amdhsa_next_free_sgpr 7
		.amdhsa_accum_offset 16
		.amdhsa_reserve_vcc 0
		.amdhsa_reserve_flat_scratch 0
		.amdhsa_float_round_mode_32 0
		.amdhsa_float_round_mode_16_64 0
		.amdhsa_float_denorm_mode_32 3
		.amdhsa_float_denorm_mode_16_64 3
		.amdhsa_dx10_clamp 1
		.amdhsa_ieee_mode 1
		.amdhsa_fp16_overflow 0
		.amdhsa_tg_split 0
		.amdhsa_exception_fp_ieee_invalid_op 0
		.amdhsa_exception_fp_denorm_src 0
		.amdhsa_exception_fp_ieee_div_zero 0
		.amdhsa_exception_fp_ieee_overflow 0
		.amdhsa_exception_fp_ieee_underflow 0
		.amdhsa_exception_fp_ieee_inexact 0
		.amdhsa_exception_int_div_zero 0
	.end_amdhsa_kernel
	.section	.text._Z30warp_striped_to_blocked_kernelIiiLj512ELj4EEvPT_PT0_,"axG",@progbits,_Z30warp_striped_to_blocked_kernelIiiLj512ELj4EEvPT_PT0_,comdat
.Lfunc_end75:
	.size	_Z30warp_striped_to_blocked_kernelIiiLj512ELj4EEvPT_PT0_, .Lfunc_end75-_Z30warp_striped_to_blocked_kernelIiiLj512ELj4EEvPT_PT0_
                                        ; -- End function
	.section	.AMDGPU.csdata,"",@progbits
; Kernel info:
; codeLenInByte = 252
; NumSgprs: 11
; NumVgprs: 14
; NumAgprs: 0
; TotalNumVgprs: 14
; ScratchSize: 0
; MemoryBound: 0
; FloatMode: 240
; IeeeMode: 1
; LDSByteSize: 2112 bytes/workgroup (compile time only)
; SGPRBlocks: 1
; VGPRBlocks: 1
; NumSGPRsForWavesPerEU: 11
; NumVGPRsForWavesPerEU: 14
; AccumOffset: 16
; Occupancy: 8
; WaveLimiterHint : 0
; COMPUTE_PGM_RSRC2:SCRATCH_EN: 0
; COMPUTE_PGM_RSRC2:USER_SGPR: 6
; COMPUTE_PGM_RSRC2:TRAP_HANDLER: 0
; COMPUTE_PGM_RSRC2:TGID_X_EN: 1
; COMPUTE_PGM_RSRC2:TGID_Y_EN: 0
; COMPUTE_PGM_RSRC2:TGID_Z_EN: 0
; COMPUTE_PGM_RSRC2:TIDIG_COMP_CNT: 0
; COMPUTE_PGM_RSRC3_GFX90A:ACCUM_OFFSET: 3
; COMPUTE_PGM_RSRC3_GFX90A:TG_SPLIT: 0
	.section	.text._Z25scatter_to_blocked_kernelIsiLj2106ELj9EEvPT_PT0_Pj,"axG",@progbits,_Z25scatter_to_blocked_kernelIsiLj2106ELj9EEvPT_PT0_Pj,comdat
	.protected	_Z25scatter_to_blocked_kernelIsiLj2106ELj9EEvPT_PT0_Pj ; -- Begin function _Z25scatter_to_blocked_kernelIsiLj2106ELj9EEvPT_PT0_Pj
	.globl	_Z25scatter_to_blocked_kernelIsiLj2106ELj9EEvPT_PT0_Pj
	.p2align	8
	.type	_Z25scatter_to_blocked_kernelIsiLj2106ELj9EEvPT_PT0_Pj,@function
_Z25scatter_to_blocked_kernelIsiLj2106ELj9EEvPT_PT0_Pj: ; @_Z25scatter_to_blocked_kernelIsiLj2106ELj9EEvPT_PT0_Pj
; %bb.0:
	s_load_dwordx4 s[0:3], s[4:5], 0x0
	s_load_dwordx2 s[8:9], s[4:5], 0x10
	s_mul_i32 s4, s6, 0x83a
	s_mov_b32 s5, 0
	s_lshl_b64 s[6:7], s[4:5], 1
	s_waitcnt lgkmcnt(0)
	s_add_u32 s0, s0, s6
	s_addc_u32 s1, s1, s7
	s_lshl_b64 s[4:5], s[4:5], 2
	v_mul_u32_u24_e32 v8, 9, v0
	s_add_u32 s6, s8, s4
	s_addc_u32 s7, s9, s5
	v_lshlrev_b32_e32 v12, 2, v8
	global_load_dwordx4 v[0:3], v12, s[6:7]
	global_load_dwordx4 v[4:7], v12, s[6:7] offset:16
	v_lshlrev_b32_e32 v13, 1, v8
	global_load_dword v14, v12, s[6:7] offset:32
	global_load_dwordx4 v[8:11], v13, s[0:1]
	global_load_ushort v15, v13, s[0:1] offset:16
	s_add_u32 s0, s2, s4
	s_addc_u32 s1, s3, s5
	s_waitcnt vmcnt(4)
	v_lshlrev_b32_e32 v0, 1, v0
	v_lshlrev_b32_e32 v1, 1, v1
	;; [unrolled: 1-line block ×4, first 2 shown]
	s_waitcnt vmcnt(3)
	v_lshlrev_b32_e32 v4, 1, v4
	v_lshlrev_b32_e32 v5, 1, v5
	;; [unrolled: 1-line block ×4, first 2 shown]
	s_waitcnt vmcnt(2)
	v_lshlrev_b32_e32 v14, 1, v14
	s_waitcnt vmcnt(1)
	ds_write_b16 v0, v8
	ds_write_b16_d16_hi v1, v8
	ds_write_b16 v2, v9
	ds_write_b16_d16_hi v3, v9
	;; [unrolled: 2-line block ×4, first 2 shown]
	s_waitcnt vmcnt(0)
	ds_write_b16 v14, v15
	s_waitcnt lgkmcnt(0)
	s_barrier
	ds_read_b128 v[0:3], v13
	ds_read_i16 v13, v13 offset:16
	s_waitcnt lgkmcnt(1)
	v_ashrrev_i32_e32 v5, 16, v0
	v_bfe_i32 v4, v0, 0, 16
	v_ashrrev_i32_e32 v7, 16, v1
	v_bfe_i32 v6, v1, 0, 16
	;; [unrolled: 2-line block ×4, first 2 shown]
	global_store_dwordx4 v12, v[4:7], s[0:1]
	global_store_dwordx4 v12, v[8:11], s[0:1] offset:16
	s_waitcnt lgkmcnt(0)
	global_store_dword v12, v13, s[0:1] offset:32
	s_endpgm
	.section	.rodata,"a",@progbits
	.p2align	6, 0x0
	.amdhsa_kernel _Z25scatter_to_blocked_kernelIsiLj2106ELj9EEvPT_PT0_Pj
		.amdhsa_group_segment_fixed_size 4224
		.amdhsa_private_segment_fixed_size 0
		.amdhsa_kernarg_size 24
		.amdhsa_user_sgpr_count 6
		.amdhsa_user_sgpr_private_segment_buffer 1
		.amdhsa_user_sgpr_dispatch_ptr 0
		.amdhsa_user_sgpr_queue_ptr 0
		.amdhsa_user_sgpr_kernarg_segment_ptr 1
		.amdhsa_user_sgpr_dispatch_id 0
		.amdhsa_user_sgpr_flat_scratch_init 0
		.amdhsa_user_sgpr_kernarg_preload_length 0
		.amdhsa_user_sgpr_kernarg_preload_offset 0
		.amdhsa_user_sgpr_private_segment_size 0
		.amdhsa_uses_dynamic_stack 0
		.amdhsa_system_sgpr_private_segment_wavefront_offset 0
		.amdhsa_system_sgpr_workgroup_id_x 1
		.amdhsa_system_sgpr_workgroup_id_y 0
		.amdhsa_system_sgpr_workgroup_id_z 0
		.amdhsa_system_sgpr_workgroup_info 0
		.amdhsa_system_vgpr_workitem_id 0
		.amdhsa_next_free_vgpr 16
		.amdhsa_next_free_sgpr 10
		.amdhsa_accum_offset 16
		.amdhsa_reserve_vcc 0
		.amdhsa_reserve_flat_scratch 0
		.amdhsa_float_round_mode_32 0
		.amdhsa_float_round_mode_16_64 0
		.amdhsa_float_denorm_mode_32 3
		.amdhsa_float_denorm_mode_16_64 3
		.amdhsa_dx10_clamp 1
		.amdhsa_ieee_mode 1
		.amdhsa_fp16_overflow 0
		.amdhsa_tg_split 0
		.amdhsa_exception_fp_ieee_invalid_op 0
		.amdhsa_exception_fp_denorm_src 0
		.amdhsa_exception_fp_ieee_div_zero 0
		.amdhsa_exception_fp_ieee_overflow 0
		.amdhsa_exception_fp_ieee_underflow 0
		.amdhsa_exception_fp_ieee_inexact 0
		.amdhsa_exception_int_div_zero 0
	.end_amdhsa_kernel
	.section	.text._Z25scatter_to_blocked_kernelIsiLj2106ELj9EEvPT_PT0_Pj,"axG",@progbits,_Z25scatter_to_blocked_kernelIsiLj2106ELj9EEvPT_PT0_Pj,comdat
.Lfunc_end76:
	.size	_Z25scatter_to_blocked_kernelIsiLj2106ELj9EEvPT_PT0_Pj, .Lfunc_end76-_Z25scatter_to_blocked_kernelIsiLj2106ELj9EEvPT_PT0_Pj
                                        ; -- End function
	.section	.AMDGPU.csdata,"",@progbits
; Kernel info:
; codeLenInByte = 352
; NumSgprs: 14
; NumVgprs: 16
; NumAgprs: 0
; TotalNumVgprs: 16
; ScratchSize: 0
; MemoryBound: 0
; FloatMode: 240
; IeeeMode: 1
; LDSByteSize: 4224 bytes/workgroup (compile time only)
; SGPRBlocks: 1
; VGPRBlocks: 1
; NumSGPRsForWavesPerEU: 14
; NumVGPRsForWavesPerEU: 16
; AccumOffset: 16
; Occupancy: 8
; WaveLimiterHint : 0
; COMPUTE_PGM_RSRC2:SCRATCH_EN: 0
; COMPUTE_PGM_RSRC2:USER_SGPR: 6
; COMPUTE_PGM_RSRC2:TRAP_HANDLER: 0
; COMPUTE_PGM_RSRC2:TGID_X_EN: 1
; COMPUTE_PGM_RSRC2:TGID_Y_EN: 0
; COMPUTE_PGM_RSRC2:TGID_Z_EN: 0
; COMPUTE_PGM_RSRC2:TIDIG_COMP_CNT: 0
; COMPUTE_PGM_RSRC3_GFX90A:ACCUM_OFFSET: 3
; COMPUTE_PGM_RSRC3_GFX90A:TG_SPLIT: 0
	.section	.text._Z25scatter_to_blocked_kernelItjLj300ELj3EEvPT_PT0_Pj,"axG",@progbits,_Z25scatter_to_blocked_kernelItjLj300ELj3EEvPT_PT0_Pj,comdat
	.protected	_Z25scatter_to_blocked_kernelItjLj300ELj3EEvPT_PT0_Pj ; -- Begin function _Z25scatter_to_blocked_kernelItjLj300ELj3EEvPT_PT0_Pj
	.globl	_Z25scatter_to_blocked_kernelItjLj300ELj3EEvPT_PT0_Pj
	.p2align	8
	.type	_Z25scatter_to_blocked_kernelItjLj300ELj3EEvPT_PT0_Pj,@function
_Z25scatter_to_blocked_kernelItjLj300ELj3EEvPT_PT0_Pj: ; @_Z25scatter_to_blocked_kernelItjLj300ELj3EEvPT_PT0_Pj
; %bb.0:
	s_load_dwordx4 s[0:3], s[4:5], 0x0
	s_load_dwordx2 s[8:9], s[4:5], 0x10
	s_mul_i32 s4, s6, 0x12c
	s_mov_b32 s5, 0
	s_lshl_b64 s[6:7], s[4:5], 1
	s_waitcnt lgkmcnt(0)
	s_add_u32 s0, s0, s6
	s_addc_u32 s1, s1, s7
	s_lshl_b64 s[4:5], s[4:5], 2
	v_mul_u32_u24_e32 v3, 3, v0
	s_add_u32 s6, s8, s4
	s_addc_u32 s7, s9, s5
	v_lshlrev_b32_e32 v4, 2, v3
	global_load_dwordx3 v[0:2], v4, s[6:7]
	v_lshlrev_b32_e32 v3, 1, v3
	global_load_dword v5, v3, s[0:1]
	global_load_ushort v6, v3, s[0:1] offset:4
	s_add_u32 s0, s2, s4
	s_addc_u32 s1, s3, s5
	s_waitcnt vmcnt(2)
	v_lshlrev_b32_e32 v0, 1, v0
	v_lshlrev_b32_e32 v2, 1, v2
	;; [unrolled: 1-line block ×3, first 2 shown]
	s_waitcnt vmcnt(1)
	ds_write_b16 v0, v5
	ds_write_b16_d16_hi v1, v5
	s_waitcnt vmcnt(0)
	ds_write_b16 v2, v6
	s_waitcnt lgkmcnt(0)
	s_barrier
	ds_read_b32 v0, v3
	ds_read_u16 v2, v3 offset:4
	s_waitcnt lgkmcnt(1)
	v_lshrrev_b32_e32 v1, 16, v0
	v_and_b32_e32 v0, 0xffff, v0
	s_waitcnt lgkmcnt(0)
	global_store_dwordx3 v4, v[0:2], s[0:1]
	s_endpgm
	.section	.rodata,"a",@progbits
	.p2align	6, 0x0
	.amdhsa_kernel _Z25scatter_to_blocked_kernelItjLj300ELj3EEvPT_PT0_Pj
		.amdhsa_group_segment_fixed_size 608
		.amdhsa_private_segment_fixed_size 0
		.amdhsa_kernarg_size 24
		.amdhsa_user_sgpr_count 6
		.amdhsa_user_sgpr_private_segment_buffer 1
		.amdhsa_user_sgpr_dispatch_ptr 0
		.amdhsa_user_sgpr_queue_ptr 0
		.amdhsa_user_sgpr_kernarg_segment_ptr 1
		.amdhsa_user_sgpr_dispatch_id 0
		.amdhsa_user_sgpr_flat_scratch_init 0
		.amdhsa_user_sgpr_kernarg_preload_length 0
		.amdhsa_user_sgpr_kernarg_preload_offset 0
		.amdhsa_user_sgpr_private_segment_size 0
		.amdhsa_uses_dynamic_stack 0
		.amdhsa_system_sgpr_private_segment_wavefront_offset 0
		.amdhsa_system_sgpr_workgroup_id_x 1
		.amdhsa_system_sgpr_workgroup_id_y 0
		.amdhsa_system_sgpr_workgroup_id_z 0
		.amdhsa_system_sgpr_workgroup_info 0
		.amdhsa_system_vgpr_workitem_id 0
		.amdhsa_next_free_vgpr 7
		.amdhsa_next_free_sgpr 10
		.amdhsa_accum_offset 8
		.amdhsa_reserve_vcc 0
		.amdhsa_reserve_flat_scratch 0
		.amdhsa_float_round_mode_32 0
		.amdhsa_float_round_mode_16_64 0
		.amdhsa_float_denorm_mode_32 3
		.amdhsa_float_denorm_mode_16_64 3
		.amdhsa_dx10_clamp 1
		.amdhsa_ieee_mode 1
		.amdhsa_fp16_overflow 0
		.amdhsa_tg_split 0
		.amdhsa_exception_fp_ieee_invalid_op 0
		.amdhsa_exception_fp_denorm_src 0
		.amdhsa_exception_fp_ieee_div_zero 0
		.amdhsa_exception_fp_ieee_overflow 0
		.amdhsa_exception_fp_ieee_underflow 0
		.amdhsa_exception_fp_ieee_inexact 0
		.amdhsa_exception_int_div_zero 0
	.end_amdhsa_kernel
	.section	.text._Z25scatter_to_blocked_kernelItjLj300ELj3EEvPT_PT0_Pj,"axG",@progbits,_Z25scatter_to_blocked_kernelItjLj300ELj3EEvPT_PT0_Pj,comdat
.Lfunc_end77:
	.size	_Z25scatter_to_blocked_kernelItjLj300ELj3EEvPT_PT0_Pj, .Lfunc_end77-_Z25scatter_to_blocked_kernelItjLj300ELj3EEvPT_PT0_Pj
                                        ; -- End function
	.section	.AMDGPU.csdata,"",@progbits
; Kernel info:
; codeLenInByte = 204
; NumSgprs: 14
; NumVgprs: 7
; NumAgprs: 0
; TotalNumVgprs: 7
; ScratchSize: 0
; MemoryBound: 0
; FloatMode: 240
; IeeeMode: 1
; LDSByteSize: 608 bytes/workgroup (compile time only)
; SGPRBlocks: 1
; VGPRBlocks: 0
; NumSGPRsForWavesPerEU: 14
; NumVGPRsForWavesPerEU: 7
; AccumOffset: 8
; Occupancy: 8
; WaveLimiterHint : 0
; COMPUTE_PGM_RSRC2:SCRATCH_EN: 0
; COMPUTE_PGM_RSRC2:USER_SGPR: 6
; COMPUTE_PGM_RSRC2:TRAP_HANDLER: 0
; COMPUTE_PGM_RSRC2:TGID_X_EN: 1
; COMPUTE_PGM_RSRC2:TGID_Y_EN: 0
; COMPUTE_PGM_RSRC2:TGID_Z_EN: 0
; COMPUTE_PGM_RSRC2:TIDIG_COMP_CNT: 0
; COMPUTE_PGM_RSRC3_GFX90A:ACCUM_OFFSET: 1
; COMPUTE_PGM_RSRC3_GFX90A:TG_SPLIT: 0
	.section	.text._Z25scatter_to_blocked_kernelIc5dummyIdELj928ELj2EEvPT_PT0_Pj,"axG",@progbits,_Z25scatter_to_blocked_kernelIc5dummyIdELj928ELj2EEvPT_PT0_Pj,comdat
	.protected	_Z25scatter_to_blocked_kernelIc5dummyIdELj928ELj2EEvPT_PT0_Pj ; -- Begin function _Z25scatter_to_blocked_kernelIc5dummyIdELj928ELj2EEvPT_PT0_Pj
	.globl	_Z25scatter_to_blocked_kernelIc5dummyIdELj928ELj2EEvPT_PT0_Pj
	.p2align	8
	.type	_Z25scatter_to_blocked_kernelIc5dummyIdELj928ELj2EEvPT_PT0_Pj,@function
_Z25scatter_to_blocked_kernelIc5dummyIdELj928ELj2EEvPT_PT0_Pj: ; @_Z25scatter_to_blocked_kernelIc5dummyIdELj928ELj2EEvPT_PT0_Pj
; %bb.0:
	s_load_dwordx4 s[0:3], s[4:5], 0x0
	s_load_dwordx2 s[8:9], s[4:5], 0x10
	s_mul_i32 s4, s6, 0x3a0
	s_mov_b32 s5, 0
	v_lshlrev_b32_e32 v1, 1, v0
	s_waitcnt lgkmcnt(0)
	s_add_u32 s0, s0, s4
	s_addc_u32 s1, s1, 0
	global_load_ushort v4, v1, s[0:1]
	s_lshl_b64 s[0:1], s[4:5], 2
	s_add_u32 s0, s8, s0
	s_addc_u32 s1, s9, s1
	v_lshlrev_b32_e32 v2, 3, v0
	global_load_dwordx2 v[2:3], v2, s[0:1]
	v_lshrrev_b32_e32 v5, 4, v0
	v_lshlrev_b32_e32 v8, 5, v0
	v_and_b32_e32 v0, 28, v5
	v_add_u32_e32 v0, v0, v1
	s_lshl_b64 s[0:1], s[4:5], 4
	s_add_u32 s0, s2, s0
	s_addc_u32 s1, s3, s1
	s_waitcnt vmcnt(1)
	v_lshrrev_b16_e32 v1, 8, v4
	s_waitcnt vmcnt(0)
	v_lshrrev_b32_e32 v6, 5, v2
	v_lshrrev_b32_e32 v5, 5, v3
	v_and_b32_e32 v6, 0x7fffffc, v6
	v_and_b32_e32 v5, 0x7fffffc, v5
	v_add_u32_e32 v2, v6, v2
	v_add_u32_e32 v3, v5, v3
	ds_write_b8 v2, v4
	ds_write_b8 v3, v1
	s_waitcnt lgkmcnt(0)
	s_barrier
	ds_read_i8 v1, v0
	ds_read_i8 v0, v0 offset:1
	s_waitcnt lgkmcnt(1)
	v_add_u32_e32 v2, 1, v1
	v_lshlrev_b32_e32 v3, 1, v1
	s_waitcnt lgkmcnt(0)
	v_add_u32_e32 v4, 1, v0
	v_lshlrev_b32_e32 v6, 1, v0
	v_cvt_f64_i32_e32 v[0:1], v2
	v_cvt_f64_i32_e32 v[2:3], v3
	;; [unrolled: 1-line block ×4, first 2 shown]
	global_store_dwordx4 v8, v[0:3], s[0:1]
	global_store_dwordx4 v8, v[4:7], s[0:1] offset:16
	s_endpgm
	.section	.rodata,"a",@progbits
	.p2align	6, 0x0
	.amdhsa_kernel _Z25scatter_to_blocked_kernelIc5dummyIdELj928ELj2EEvPT_PT0_Pj
		.amdhsa_group_segment_fixed_size 960
		.amdhsa_private_segment_fixed_size 0
		.amdhsa_kernarg_size 24
		.amdhsa_user_sgpr_count 6
		.amdhsa_user_sgpr_private_segment_buffer 1
		.amdhsa_user_sgpr_dispatch_ptr 0
		.amdhsa_user_sgpr_queue_ptr 0
		.amdhsa_user_sgpr_kernarg_segment_ptr 1
		.amdhsa_user_sgpr_dispatch_id 0
		.amdhsa_user_sgpr_flat_scratch_init 0
		.amdhsa_user_sgpr_kernarg_preload_length 0
		.amdhsa_user_sgpr_kernarg_preload_offset 0
		.amdhsa_user_sgpr_private_segment_size 0
		.amdhsa_uses_dynamic_stack 0
		.amdhsa_system_sgpr_private_segment_wavefront_offset 0
		.amdhsa_system_sgpr_workgroup_id_x 1
		.amdhsa_system_sgpr_workgroup_id_y 0
		.amdhsa_system_sgpr_workgroup_id_z 0
		.amdhsa_system_sgpr_workgroup_info 0
		.amdhsa_system_vgpr_workitem_id 0
		.amdhsa_next_free_vgpr 9
		.amdhsa_next_free_sgpr 10
		.amdhsa_accum_offset 12
		.amdhsa_reserve_vcc 0
		.amdhsa_reserve_flat_scratch 0
		.amdhsa_float_round_mode_32 0
		.amdhsa_float_round_mode_16_64 0
		.amdhsa_float_denorm_mode_32 3
		.amdhsa_float_denorm_mode_16_64 3
		.amdhsa_dx10_clamp 1
		.amdhsa_ieee_mode 1
		.amdhsa_fp16_overflow 0
		.amdhsa_tg_split 0
		.amdhsa_exception_fp_ieee_invalid_op 0
		.amdhsa_exception_fp_denorm_src 0
		.amdhsa_exception_fp_ieee_div_zero 0
		.amdhsa_exception_fp_ieee_overflow 0
		.amdhsa_exception_fp_ieee_underflow 0
		.amdhsa_exception_fp_ieee_inexact 0
		.amdhsa_exception_int_div_zero 0
	.end_amdhsa_kernel
	.section	.text._Z25scatter_to_blocked_kernelIc5dummyIdELj928ELj2EEvPT_PT0_Pj,"axG",@progbits,_Z25scatter_to_blocked_kernelIc5dummyIdELj928ELj2EEvPT_PT0_Pj,comdat
.Lfunc_end78:
	.size	_Z25scatter_to_blocked_kernelIc5dummyIdELj928ELj2EEvPT_PT0_Pj, .Lfunc_end78-_Z25scatter_to_blocked_kernelIc5dummyIdELj928ELj2EEvPT_PT0_Pj
                                        ; -- End function
	.section	.AMDGPU.csdata,"",@progbits
; Kernel info:
; codeLenInByte = 248
; NumSgprs: 14
; NumVgprs: 9
; NumAgprs: 0
; TotalNumVgprs: 9
; ScratchSize: 0
; MemoryBound: 0
; FloatMode: 240
; IeeeMode: 1
; LDSByteSize: 960 bytes/workgroup (compile time only)
; SGPRBlocks: 1
; VGPRBlocks: 1
; NumSGPRsForWavesPerEU: 14
; NumVGPRsForWavesPerEU: 9
; AccumOffset: 12
; Occupancy: 8
; WaveLimiterHint : 0
; COMPUTE_PGM_RSRC2:SCRATCH_EN: 0
; COMPUTE_PGM_RSRC2:USER_SGPR: 6
; COMPUTE_PGM_RSRC2:TRAP_HANDLER: 0
; COMPUTE_PGM_RSRC2:TGID_X_EN: 1
; COMPUTE_PGM_RSRC2:TGID_Y_EN: 0
; COMPUTE_PGM_RSRC2:TGID_Z_EN: 0
; COMPUTE_PGM_RSRC2:TIDIG_COMP_CNT: 0
; COMPUTE_PGM_RSRC3_GFX90A:ACCUM_OFFSET: 2
; COMPUTE_PGM_RSRC3_GFX90A:TG_SPLIT: 0
	.section	.text._Z25scatter_to_blocked_kernelIfiLj165ELj5EEvPT_PT0_Pj,"axG",@progbits,_Z25scatter_to_blocked_kernelIfiLj165ELj5EEvPT_PT0_Pj,comdat
	.protected	_Z25scatter_to_blocked_kernelIfiLj165ELj5EEvPT_PT0_Pj ; -- Begin function _Z25scatter_to_blocked_kernelIfiLj165ELj5EEvPT_PT0_Pj
	.globl	_Z25scatter_to_blocked_kernelIfiLj165ELj5EEvPT_PT0_Pj
	.p2align	8
	.type	_Z25scatter_to_blocked_kernelIfiLj165ELj5EEvPT_PT0_Pj,@function
_Z25scatter_to_blocked_kernelIfiLj165ELj5EEvPT_PT0_Pj: ; @_Z25scatter_to_blocked_kernelIfiLj165ELj5EEvPT_PT0_Pj
; %bb.0:
	s_load_dwordx4 s[0:3], s[4:5], 0x0
	s_load_dwordx2 s[8:9], s[4:5], 0x10
	s_mul_i32 s4, s6, 0xa5
	s_mov_b32 s5, 0
	s_lshl_b64 s[4:5], s[4:5], 2
	s_waitcnt lgkmcnt(0)
	s_add_u32 s0, s0, s4
	s_addc_u32 s1, s1, s5
	v_mul_u32_u24_e32 v0, 5, v0
	s_add_u32 s6, s8, s4
	v_lshlrev_b32_e32 v8, 2, v0
	s_addc_u32 s7, s9, s5
	global_load_dwordx4 v[0:3], v8, s[6:7]
	global_load_dword v9, v8, s[6:7] offset:16
	global_load_dwordx4 v[4:7], v8, s[0:1]
	global_load_dword v10, v8, s[0:1] offset:16
	s_add_u32 s0, s2, s4
	s_addc_u32 s1, s3, s5
	s_waitcnt vmcnt(3)
	v_lshlrev_b32_e32 v0, 2, v0
	v_lshlrev_b32_e32 v1, 2, v1
	;; [unrolled: 1-line block ×4, first 2 shown]
	s_waitcnt vmcnt(2)
	v_lshlrev_b32_e32 v9, 2, v9
	s_waitcnt vmcnt(1)
	ds_write_b32 v0, v4
	ds_write_b32 v1, v5
	;; [unrolled: 1-line block ×4, first 2 shown]
	s_waitcnt vmcnt(0)
	ds_write_b32 v9, v10
	s_waitcnt lgkmcnt(0)
	s_barrier
	ds_read2_b32 v[0:1], v8 offset1:1
	ds_read2_b32 v[2:3], v8 offset0:2 offset1:3
	ds_read_b32 v4, v8 offset:16
	s_waitcnt lgkmcnt(2)
	v_cvt_i32_f32_e32 v1, v1
	v_cvt_i32_f32_e32 v0, v0
	s_waitcnt lgkmcnt(1)
	v_cvt_i32_f32_e32 v3, v3
	v_cvt_i32_f32_e32 v2, v2
	s_waitcnt lgkmcnt(0)
	v_cvt_i32_f32_e32 v4, v4
	global_store_dwordx4 v8, v[0:3], s[0:1]
	global_store_dword v8, v4, s[0:1] offset:16
	s_endpgm
	.section	.rodata,"a",@progbits
	.p2align	6, 0x0
	.amdhsa_kernel _Z25scatter_to_blocked_kernelIfiLj165ELj5EEvPT_PT0_Pj
		.amdhsa_group_segment_fixed_size 672
		.amdhsa_private_segment_fixed_size 0
		.amdhsa_kernarg_size 24
		.amdhsa_user_sgpr_count 6
		.amdhsa_user_sgpr_private_segment_buffer 1
		.amdhsa_user_sgpr_dispatch_ptr 0
		.amdhsa_user_sgpr_queue_ptr 0
		.amdhsa_user_sgpr_kernarg_segment_ptr 1
		.amdhsa_user_sgpr_dispatch_id 0
		.amdhsa_user_sgpr_flat_scratch_init 0
		.amdhsa_user_sgpr_kernarg_preload_length 0
		.amdhsa_user_sgpr_kernarg_preload_offset 0
		.amdhsa_user_sgpr_private_segment_size 0
		.amdhsa_uses_dynamic_stack 0
		.amdhsa_system_sgpr_private_segment_wavefront_offset 0
		.amdhsa_system_sgpr_workgroup_id_x 1
		.amdhsa_system_sgpr_workgroup_id_y 0
		.amdhsa_system_sgpr_workgroup_id_z 0
		.amdhsa_system_sgpr_workgroup_info 0
		.amdhsa_system_vgpr_workitem_id 0
		.amdhsa_next_free_vgpr 11
		.amdhsa_next_free_sgpr 10
		.amdhsa_accum_offset 12
		.amdhsa_reserve_vcc 0
		.amdhsa_reserve_flat_scratch 0
		.amdhsa_float_round_mode_32 0
		.amdhsa_float_round_mode_16_64 0
		.amdhsa_float_denorm_mode_32 3
		.amdhsa_float_denorm_mode_16_64 3
		.amdhsa_dx10_clamp 1
		.amdhsa_ieee_mode 1
		.amdhsa_fp16_overflow 0
		.amdhsa_tg_split 0
		.amdhsa_exception_fp_ieee_invalid_op 0
		.amdhsa_exception_fp_denorm_src 0
		.amdhsa_exception_fp_ieee_div_zero 0
		.amdhsa_exception_fp_ieee_overflow 0
		.amdhsa_exception_fp_ieee_underflow 0
		.amdhsa_exception_fp_ieee_inexact 0
		.amdhsa_exception_int_div_zero 0
	.end_amdhsa_kernel
	.section	.text._Z25scatter_to_blocked_kernelIfiLj165ELj5EEvPT_PT0_Pj,"axG",@progbits,_Z25scatter_to_blocked_kernelIfiLj165ELj5EEvPT_PT0_Pj,comdat
.Lfunc_end79:
	.size	_Z25scatter_to_blocked_kernelIfiLj165ELj5EEvPT_PT0_Pj, .Lfunc_end79-_Z25scatter_to_blocked_kernelIfiLj165ELj5EEvPT_PT0_Pj
                                        ; -- End function
	.section	.AMDGPU.csdata,"",@progbits
; Kernel info:
; codeLenInByte = 260
; NumSgprs: 14
; NumVgprs: 11
; NumAgprs: 0
; TotalNumVgprs: 11
; ScratchSize: 0
; MemoryBound: 0
; FloatMode: 240
; IeeeMode: 1
; LDSByteSize: 672 bytes/workgroup (compile time only)
; SGPRBlocks: 1
; VGPRBlocks: 1
; NumSGPRsForWavesPerEU: 14
; NumVGPRsForWavesPerEU: 11
; AccumOffset: 12
; Occupancy: 8
; WaveLimiterHint : 0
; COMPUTE_PGM_RSRC2:SCRATCH_EN: 0
; COMPUTE_PGM_RSRC2:USER_SGPR: 6
; COMPUTE_PGM_RSRC2:TRAP_HANDLER: 0
; COMPUTE_PGM_RSRC2:TGID_X_EN: 1
; COMPUTE_PGM_RSRC2:TGID_Y_EN: 0
; COMPUTE_PGM_RSRC2:TGID_Z_EN: 0
; COMPUTE_PGM_RSRC2:TIDIG_COMP_CNT: 0
; COMPUTE_PGM_RSRC3_GFX90A:ACCUM_OFFSET: 2
; COMPUTE_PGM_RSRC3_GFX90A:TG_SPLIT: 0
	.section	.text._Z25scatter_to_blocked_kernelIidLj165ELj5EEvPT_PT0_Pj,"axG",@progbits,_Z25scatter_to_blocked_kernelIidLj165ELj5EEvPT_PT0_Pj,comdat
	.protected	_Z25scatter_to_blocked_kernelIidLj165ELj5EEvPT_PT0_Pj ; -- Begin function _Z25scatter_to_blocked_kernelIidLj165ELj5EEvPT_PT0_Pj
	.globl	_Z25scatter_to_blocked_kernelIidLj165ELj5EEvPT_PT0_Pj
	.p2align	8
	.type	_Z25scatter_to_blocked_kernelIidLj165ELj5EEvPT_PT0_Pj,@function
_Z25scatter_to_blocked_kernelIidLj165ELj5EEvPT_PT0_Pj: ; @_Z25scatter_to_blocked_kernelIidLj165ELj5EEvPT_PT0_Pj
; %bb.0:
	s_load_dwordx4 s[0:3], s[4:5], 0x0
	s_load_dwordx2 s[8:9], s[4:5], 0x10
	s_mul_i32 s4, s6, 0xa5
	s_mov_b32 s5, 0
	s_lshl_b64 s[6:7], s[4:5], 2
	s_waitcnt lgkmcnt(0)
	s_add_u32 s0, s0, s6
	s_addc_u32 s1, s1, s7
	v_mul_u32_u24_e32 v8, 5, v0
	s_add_u32 s6, s8, s6
	v_lshlrev_b32_e32 v9, 2, v8
	s_addc_u32 s7, s9, s7
	global_load_dwordx4 v[0:3], v9, s[6:7]
	global_load_dword v10, v9, s[6:7] offset:16
	global_load_dwordx4 v[4:7], v9, s[0:1]
	global_load_dword v11, v9, s[0:1] offset:16
	v_lshlrev_b32_e32 v12, 3, v8
	s_lshl_b64 s[0:1], s[4:5], 3
	s_add_u32 s0, s2, s0
	s_addc_u32 s1, s3, s1
	s_waitcnt vmcnt(3)
	v_lshlrev_b32_e32 v0, 2, v0
	v_lshlrev_b32_e32 v2, 2, v2
	;; [unrolled: 1-line block ×4, first 2 shown]
	s_waitcnt vmcnt(2)
	v_lshlrev_b32_e32 v8, 2, v10
	s_waitcnt vmcnt(1)
	ds_write_b32 v0, v4
	ds_write_b32 v1, v5
	;; [unrolled: 1-line block ×4, first 2 shown]
	s_waitcnt vmcnt(0)
	ds_write_b32 v8, v11
	s_waitcnt lgkmcnt(0)
	s_barrier
	ds_read2_b32 v[2:3], v9 offset1:1
	ds_read2_b32 v[6:7], v9 offset0:2 offset1:3
	ds_read_b32 v8, v9 offset:16
	s_waitcnt lgkmcnt(2)
	v_cvt_f64_i32_e32 v[0:1], v2
	v_cvt_f64_i32_e32 v[2:3], v3
	s_waitcnt lgkmcnt(1)
	v_cvt_f64_i32_e32 v[4:5], v6
	v_cvt_f64_i32_e32 v[6:7], v7
	s_waitcnt lgkmcnt(0)
	v_cvt_f64_i32_e32 v[8:9], v8
	global_store_dwordx4 v12, v[0:3], s[0:1]
	global_store_dwordx4 v12, v[4:7], s[0:1] offset:16
	global_store_dwordx2 v12, v[8:9], s[0:1] offset:32
	s_endpgm
	.section	.rodata,"a",@progbits
	.p2align	6, 0x0
	.amdhsa_kernel _Z25scatter_to_blocked_kernelIidLj165ELj5EEvPT_PT0_Pj
		.amdhsa_group_segment_fixed_size 672
		.amdhsa_private_segment_fixed_size 0
		.amdhsa_kernarg_size 24
		.amdhsa_user_sgpr_count 6
		.amdhsa_user_sgpr_private_segment_buffer 1
		.amdhsa_user_sgpr_dispatch_ptr 0
		.amdhsa_user_sgpr_queue_ptr 0
		.amdhsa_user_sgpr_kernarg_segment_ptr 1
		.amdhsa_user_sgpr_dispatch_id 0
		.amdhsa_user_sgpr_flat_scratch_init 0
		.amdhsa_user_sgpr_kernarg_preload_length 0
		.amdhsa_user_sgpr_kernarg_preload_offset 0
		.amdhsa_user_sgpr_private_segment_size 0
		.amdhsa_uses_dynamic_stack 0
		.amdhsa_system_sgpr_private_segment_wavefront_offset 0
		.amdhsa_system_sgpr_workgroup_id_x 1
		.amdhsa_system_sgpr_workgroup_id_y 0
		.amdhsa_system_sgpr_workgroup_id_z 0
		.amdhsa_system_sgpr_workgroup_info 0
		.amdhsa_system_vgpr_workitem_id 0
		.amdhsa_next_free_vgpr 13
		.amdhsa_next_free_sgpr 10
		.amdhsa_accum_offset 16
		.amdhsa_reserve_vcc 0
		.amdhsa_reserve_flat_scratch 0
		.amdhsa_float_round_mode_32 0
		.amdhsa_float_round_mode_16_64 0
		.amdhsa_float_denorm_mode_32 3
		.amdhsa_float_denorm_mode_16_64 3
		.amdhsa_dx10_clamp 1
		.amdhsa_ieee_mode 1
		.amdhsa_fp16_overflow 0
		.amdhsa_tg_split 0
		.amdhsa_exception_fp_ieee_invalid_op 0
		.amdhsa_exception_fp_denorm_src 0
		.amdhsa_exception_fp_ieee_div_zero 0
		.amdhsa_exception_fp_ieee_overflow 0
		.amdhsa_exception_fp_ieee_underflow 0
		.amdhsa_exception_fp_ieee_inexact 0
		.amdhsa_exception_int_div_zero 0
	.end_amdhsa_kernel
	.section	.text._Z25scatter_to_blocked_kernelIidLj165ELj5EEvPT_PT0_Pj,"axG",@progbits,_Z25scatter_to_blocked_kernelIidLj165ELj5EEvPT_PT0_Pj,comdat
.Lfunc_end80:
	.size	_Z25scatter_to_blocked_kernelIidLj165ELj5EEvPT_PT0_Pj, .Lfunc_end80-_Z25scatter_to_blocked_kernelIidLj165ELj5EEvPT_PT0_Pj
                                        ; -- End function
	.section	.AMDGPU.csdata,"",@progbits
; Kernel info:
; codeLenInByte = 276
; NumSgprs: 14
; NumVgprs: 13
; NumAgprs: 0
; TotalNumVgprs: 13
; ScratchSize: 0
; MemoryBound: 0
; FloatMode: 240
; IeeeMode: 1
; LDSByteSize: 672 bytes/workgroup (compile time only)
; SGPRBlocks: 1
; VGPRBlocks: 1
; NumSGPRsForWavesPerEU: 14
; NumVGPRsForWavesPerEU: 13
; AccumOffset: 16
; Occupancy: 8
; WaveLimiterHint : 0
; COMPUTE_PGM_RSRC2:SCRATCH_EN: 0
; COMPUTE_PGM_RSRC2:USER_SGPR: 6
; COMPUTE_PGM_RSRC2:TRAP_HANDLER: 0
; COMPUTE_PGM_RSRC2:TGID_X_EN: 1
; COMPUTE_PGM_RSRC2:TGID_Y_EN: 0
; COMPUTE_PGM_RSRC2:TGID_Z_EN: 0
; COMPUTE_PGM_RSRC2:TIDIG_COMP_CNT: 0
; COMPUTE_PGM_RSRC3_GFX90A:ACCUM_OFFSET: 3
; COMPUTE_PGM_RSRC3_GFX90A:TG_SPLIT: 0
	.section	.text._Z25scatter_to_blocked_kernelIyyLj192ELj3EEvPT_PT0_Pj,"axG",@progbits,_Z25scatter_to_blocked_kernelIyyLj192ELj3EEvPT_PT0_Pj,comdat
	.protected	_Z25scatter_to_blocked_kernelIyyLj192ELj3EEvPT_PT0_Pj ; -- Begin function _Z25scatter_to_blocked_kernelIyyLj192ELj3EEvPT_PT0_Pj
	.globl	_Z25scatter_to_blocked_kernelIyyLj192ELj3EEvPT_PT0_Pj
	.p2align	8
	.type	_Z25scatter_to_blocked_kernelIyyLj192ELj3EEvPT_PT0_Pj,@function
_Z25scatter_to_blocked_kernelIyyLj192ELj3EEvPT_PT0_Pj: ; @_Z25scatter_to_blocked_kernelIyyLj192ELj3EEvPT_PT0_Pj
; %bb.0:
	s_load_dwordx4 s[0:3], s[4:5], 0x0
	s_load_dwordx2 s[8:9], s[4:5], 0x10
	s_mul_i32 s4, s6, 0xc0
	s_mov_b32 s5, 0
	s_lshl_b64 s[6:7], s[4:5], 3
	s_waitcnt lgkmcnt(0)
	s_add_u32 s0, s0, s6
	s_addc_u32 s1, s1, s7
	s_lshl_b64 s[4:5], s[4:5], 2
	v_mul_u32_u24_e32 v0, 3, v0
	s_add_u32 s4, s8, s4
	s_addc_u32 s5, s9, s5
	v_lshlrev_b32_e32 v1, 2, v0
	global_load_dwordx3 v[4:6], v1, s[4:5]
	v_lshlrev_b32_e32 v7, 3, v0
	global_load_dwordx4 v[0:3], v7, s[0:1]
	global_load_dwordx2 v[8:9], v7, s[0:1] offset:16
	s_add_u32 s0, s2, s6
	s_addc_u32 s1, s3, s7
	s_waitcnt vmcnt(2)
	v_lshlrev_b32_e32 v4, 3, v4
	v_lshlrev_b32_e32 v5, 3, v5
	;; [unrolled: 1-line block ×3, first 2 shown]
	s_waitcnt vmcnt(1)
	ds_write_b64 v4, v[0:1]
	ds_write_b64 v5, v[2:3]
	s_waitcnt vmcnt(0)
	ds_write_b64 v6, v[8:9]
	s_waitcnt lgkmcnt(0)
	s_barrier
	ds_read2_b64 v[0:3], v7 offset1:1
	ds_read_b64 v[4:5], v7 offset:16
	s_waitcnt lgkmcnt(1)
	global_store_dwordx4 v7, v[0:3], s[0:1]
	s_waitcnt lgkmcnt(0)
	global_store_dwordx2 v7, v[4:5], s[0:1] offset:16
	s_endpgm
	.section	.rodata,"a",@progbits
	.p2align	6, 0x0
	.amdhsa_kernel _Z25scatter_to_blocked_kernelIyyLj192ELj3EEvPT_PT0_Pj
		.amdhsa_group_segment_fixed_size 1536
		.amdhsa_private_segment_fixed_size 0
		.amdhsa_kernarg_size 24
		.amdhsa_user_sgpr_count 6
		.amdhsa_user_sgpr_private_segment_buffer 1
		.amdhsa_user_sgpr_dispatch_ptr 0
		.amdhsa_user_sgpr_queue_ptr 0
		.amdhsa_user_sgpr_kernarg_segment_ptr 1
		.amdhsa_user_sgpr_dispatch_id 0
		.amdhsa_user_sgpr_flat_scratch_init 0
		.amdhsa_user_sgpr_kernarg_preload_length 0
		.amdhsa_user_sgpr_kernarg_preload_offset 0
		.amdhsa_user_sgpr_private_segment_size 0
		.amdhsa_uses_dynamic_stack 0
		.amdhsa_system_sgpr_private_segment_wavefront_offset 0
		.amdhsa_system_sgpr_workgroup_id_x 1
		.amdhsa_system_sgpr_workgroup_id_y 0
		.amdhsa_system_sgpr_workgroup_id_z 0
		.amdhsa_system_sgpr_workgroup_info 0
		.amdhsa_system_vgpr_workitem_id 0
		.amdhsa_next_free_vgpr 10
		.amdhsa_next_free_sgpr 10
		.amdhsa_accum_offset 12
		.amdhsa_reserve_vcc 0
		.amdhsa_reserve_flat_scratch 0
		.amdhsa_float_round_mode_32 0
		.amdhsa_float_round_mode_16_64 0
		.amdhsa_float_denorm_mode_32 3
		.amdhsa_float_denorm_mode_16_64 3
		.amdhsa_dx10_clamp 1
		.amdhsa_ieee_mode 1
		.amdhsa_fp16_overflow 0
		.amdhsa_tg_split 0
		.amdhsa_exception_fp_ieee_invalid_op 0
		.amdhsa_exception_fp_denorm_src 0
		.amdhsa_exception_fp_ieee_div_zero 0
		.amdhsa_exception_fp_ieee_overflow 0
		.amdhsa_exception_fp_ieee_underflow 0
		.amdhsa_exception_fp_ieee_inexact 0
		.amdhsa_exception_int_div_zero 0
	.end_amdhsa_kernel
	.section	.text._Z25scatter_to_blocked_kernelIyyLj192ELj3EEvPT_PT0_Pj,"axG",@progbits,_Z25scatter_to_blocked_kernelIyyLj192ELj3EEvPT_PT0_Pj,comdat
.Lfunc_end81:
	.size	_Z25scatter_to_blocked_kernelIyyLj192ELj3EEvPT_PT0_Pj, .Lfunc_end81-_Z25scatter_to_blocked_kernelIyyLj192ELj3EEvPT_PT0_Pj
                                        ; -- End function
	.section	.AMDGPU.csdata,"",@progbits
; Kernel info:
; codeLenInByte = 200
; NumSgprs: 14
; NumVgprs: 10
; NumAgprs: 0
; TotalNumVgprs: 10
; ScratchSize: 0
; MemoryBound: 1
; FloatMode: 240
; IeeeMode: 1
; LDSByteSize: 1536 bytes/workgroup (compile time only)
; SGPRBlocks: 1
; VGPRBlocks: 1
; NumSGPRsForWavesPerEU: 14
; NumVGPRsForWavesPerEU: 10
; AccumOffset: 12
; Occupancy: 8
; WaveLimiterHint : 1
; COMPUTE_PGM_RSRC2:SCRATCH_EN: 0
; COMPUTE_PGM_RSRC2:USER_SGPR: 6
; COMPUTE_PGM_RSRC2:TRAP_HANDLER: 0
; COMPUTE_PGM_RSRC2:TGID_X_EN: 1
; COMPUTE_PGM_RSRC2:TGID_Y_EN: 0
; COMPUTE_PGM_RSRC2:TGID_Z_EN: 0
; COMPUTE_PGM_RSRC2:TIDIG_COMP_CNT: 0
; COMPUTE_PGM_RSRC3_GFX90A:ACCUM_OFFSET: 2
; COMPUTE_PGM_RSRC3_GFX90A:TG_SPLIT: 0
	.section	.text._Z25scatter_to_blocked_kernelIiiLj384ELj3EEvPT_PT0_Pj,"axG",@progbits,_Z25scatter_to_blocked_kernelIiiLj384ELj3EEvPT_PT0_Pj,comdat
	.protected	_Z25scatter_to_blocked_kernelIiiLj384ELj3EEvPT_PT0_Pj ; -- Begin function _Z25scatter_to_blocked_kernelIiiLj384ELj3EEvPT_PT0_Pj
	.globl	_Z25scatter_to_blocked_kernelIiiLj384ELj3EEvPT_PT0_Pj
	.p2align	8
	.type	_Z25scatter_to_blocked_kernelIiiLj384ELj3EEvPT_PT0_Pj,@function
_Z25scatter_to_blocked_kernelIiiLj384ELj3EEvPT_PT0_Pj: ; @_Z25scatter_to_blocked_kernelIiiLj384ELj3EEvPT_PT0_Pj
; %bb.0:
	s_load_dwordx4 s[0:3], s[4:5], 0x0
	s_load_dwordx2 s[8:9], s[4:5], 0x10
	s_mul_i32 s4, s6, 0x180
	s_mov_b32 s5, 0
	s_lshl_b64 s[4:5], s[4:5], 2
	s_waitcnt lgkmcnt(0)
	s_add_u32 s0, s0, s4
	s_addc_u32 s1, s1, s5
	v_mul_u32_u24_e32 v0, 3, v0
	s_add_u32 s6, s8, s4
	v_lshlrev_b32_e32 v3, 2, v0
	s_addc_u32 s7, s9, s5
	global_load_dwordx3 v[0:2], v3, s[6:7]
	global_load_dwordx3 v[4:6], v3, s[0:1]
	s_add_u32 s0, s2, s4
	s_addc_u32 s1, s3, s5
	s_waitcnt vmcnt(1)
	v_lshlrev_b32_e32 v0, 2, v0
	v_lshlrev_b32_e32 v1, 2, v1
	;; [unrolled: 1-line block ×3, first 2 shown]
	s_waitcnt vmcnt(0)
	ds_write_b32 v0, v4
	ds_write_b32 v1, v5
	;; [unrolled: 1-line block ×3, first 2 shown]
	s_waitcnt lgkmcnt(0)
	s_barrier
	ds_read_b32 v2, v3 offset:8
	ds_read2_b32 v[0:1], v3 offset1:1
	s_waitcnt lgkmcnt(0)
	global_store_dwordx3 v3, v[0:2], s[0:1]
	s_endpgm
	.section	.rodata,"a",@progbits
	.p2align	6, 0x0
	.amdhsa_kernel _Z25scatter_to_blocked_kernelIiiLj384ELj3EEvPT_PT0_Pj
		.amdhsa_group_segment_fixed_size 1536
		.amdhsa_private_segment_fixed_size 0
		.amdhsa_kernarg_size 24
		.amdhsa_user_sgpr_count 6
		.amdhsa_user_sgpr_private_segment_buffer 1
		.amdhsa_user_sgpr_dispatch_ptr 0
		.amdhsa_user_sgpr_queue_ptr 0
		.amdhsa_user_sgpr_kernarg_segment_ptr 1
		.amdhsa_user_sgpr_dispatch_id 0
		.amdhsa_user_sgpr_flat_scratch_init 0
		.amdhsa_user_sgpr_kernarg_preload_length 0
		.amdhsa_user_sgpr_kernarg_preload_offset 0
		.amdhsa_user_sgpr_private_segment_size 0
		.amdhsa_uses_dynamic_stack 0
		.amdhsa_system_sgpr_private_segment_wavefront_offset 0
		.amdhsa_system_sgpr_workgroup_id_x 1
		.amdhsa_system_sgpr_workgroup_id_y 0
		.amdhsa_system_sgpr_workgroup_id_z 0
		.amdhsa_system_sgpr_workgroup_info 0
		.amdhsa_system_vgpr_workitem_id 0
		.amdhsa_next_free_vgpr 7
		.amdhsa_next_free_sgpr 10
		.amdhsa_accum_offset 8
		.amdhsa_reserve_vcc 0
		.amdhsa_reserve_flat_scratch 0
		.amdhsa_float_round_mode_32 0
		.amdhsa_float_round_mode_16_64 0
		.amdhsa_float_denorm_mode_32 3
		.amdhsa_float_denorm_mode_16_64 3
		.amdhsa_dx10_clamp 1
		.amdhsa_ieee_mode 1
		.amdhsa_fp16_overflow 0
		.amdhsa_tg_split 0
		.amdhsa_exception_fp_ieee_invalid_op 0
		.amdhsa_exception_fp_denorm_src 0
		.amdhsa_exception_fp_ieee_div_zero 0
		.amdhsa_exception_fp_ieee_overflow 0
		.amdhsa_exception_fp_ieee_underflow 0
		.amdhsa_exception_fp_ieee_inexact 0
		.amdhsa_exception_int_div_zero 0
	.end_amdhsa_kernel
	.section	.text._Z25scatter_to_blocked_kernelIiiLj384ELj3EEvPT_PT0_Pj,"axG",@progbits,_Z25scatter_to_blocked_kernelIiiLj384ELj3EEvPT_PT0_Pj,comdat
.Lfunc_end82:
	.size	_Z25scatter_to_blocked_kernelIiiLj384ELj3EEvPT_PT0_Pj, .Lfunc_end82-_Z25scatter_to_blocked_kernelIiiLj384ELj3EEvPT_PT0_Pj
                                        ; -- End function
	.section	.AMDGPU.csdata,"",@progbits
; Kernel info:
; codeLenInByte = 168
; NumSgprs: 14
; NumVgprs: 7
; NumAgprs: 0
; TotalNumVgprs: 7
; ScratchSize: 0
; MemoryBound: 0
; FloatMode: 240
; IeeeMode: 1
; LDSByteSize: 1536 bytes/workgroup (compile time only)
; SGPRBlocks: 1
; VGPRBlocks: 0
; NumSGPRsForWavesPerEU: 14
; NumVGPRsForWavesPerEU: 7
; AccumOffset: 8
; Occupancy: 8
; WaveLimiterHint : 0
; COMPUTE_PGM_RSRC2:SCRATCH_EN: 0
; COMPUTE_PGM_RSRC2:USER_SGPR: 6
; COMPUTE_PGM_RSRC2:TRAP_HANDLER: 0
; COMPUTE_PGM_RSRC2:TGID_X_EN: 1
; COMPUTE_PGM_RSRC2:TGID_Y_EN: 0
; COMPUTE_PGM_RSRC2:TGID_Z_EN: 0
; COMPUTE_PGM_RSRC2:TIDIG_COMP_CNT: 0
; COMPUTE_PGM_RSRC3_GFX90A:ACCUM_OFFSET: 1
; COMPUTE_PGM_RSRC3_GFX90A:TG_SPLIT: 0
	.section	.text._Z25scatter_to_blocked_kernelIs5dummyIfELj896ELj7EEvPT_PT0_Pj,"axG",@progbits,_Z25scatter_to_blocked_kernelIs5dummyIfELj896ELj7EEvPT_PT0_Pj,comdat
	.protected	_Z25scatter_to_blocked_kernelIs5dummyIfELj896ELj7EEvPT_PT0_Pj ; -- Begin function _Z25scatter_to_blocked_kernelIs5dummyIfELj896ELj7EEvPT_PT0_Pj
	.globl	_Z25scatter_to_blocked_kernelIs5dummyIfELj896ELj7EEvPT_PT0_Pj
	.p2align	8
	.type	_Z25scatter_to_blocked_kernelIs5dummyIfELj896ELj7EEvPT_PT0_Pj,@function
_Z25scatter_to_blocked_kernelIs5dummyIfELj896ELj7EEvPT_PT0_Pj: ; @_Z25scatter_to_blocked_kernelIs5dummyIfELj896ELj7EEvPT_PT0_Pj
; %bb.0:
	s_load_dwordx4 s[0:3], s[4:5], 0x0
	s_load_dwordx2 s[8:9], s[4:5], 0x10
	s_mul_i32 s4, s6, 0x380
	s_mov_b32 s5, 0
	s_lshl_b64 s[6:7], s[4:5], 1
	s_waitcnt lgkmcnt(0)
	s_add_u32 s0, s0, s6
	s_addc_u32 s1, s1, s7
	s_lshl_b64 s[6:7], s[4:5], 2
	v_mul_u32_u24_e32 v7, 7, v0
	s_add_u32 s6, s8, s6
	s_addc_u32 s7, s9, s7
	v_lshlrev_b32_e32 v8, 2, v7
	v_lshlrev_b32_e32 v11, 1, v7
	global_load_dwordx4 v[0:3], v8, s[6:7]
	global_load_dwordx3 v[4:6], v8, s[6:7] offset:16
	s_nop 0
	global_load_dwordx3 v[8:10], v11, s[0:1]
	global_load_ushort v12, v11, s[0:1] offset:12
	v_mov_b32_e32 v13, 1
	v_lshlrev_b32_e32 v14, 3, v7
	s_lshl_b64 s[0:1], s[4:5], 3
	s_add_u32 s0, s2, s0
	s_addc_u32 s1, s3, s1
	s_waitcnt vmcnt(3)
	v_lshlrev_b32_e32 v0, 1, v0
	v_lshlrev_b32_e32 v1, 1, v1
	;; [unrolled: 1-line block ×4, first 2 shown]
	s_waitcnt vmcnt(2)
	v_lshlrev_b32_e32 v4, 1, v4
	v_lshlrev_b32_e32 v5, 1, v5
	;; [unrolled: 1-line block ×3, first 2 shown]
	s_waitcnt vmcnt(1)
	ds_write_b16 v0, v8
	ds_write_b16_d16_hi v1, v8
	ds_write_b16 v2, v9
	ds_write_b16_d16_hi v3, v9
	;; [unrolled: 2-line block ×3, first 2 shown]
	s_waitcnt vmcnt(0)
	ds_write_b16 v6, v12
	s_waitcnt lgkmcnt(0)
	s_barrier
	ds_read_b96 v[0:2], v11
	ds_read_i16 v3, v11 offset:12
	s_waitcnt lgkmcnt(1)
	v_add_u32_sdwa v4, sext(v0), v13 dst_sel:DWORD dst_unused:UNUSED_PAD src0_sel:WORD_0 src1_sel:DWORD
	v_lshlrev_b32_sdwa v5, v13, sext(v0) dst_sel:DWORD dst_unused:UNUSED_PAD src0_sel:DWORD src1_sel:WORD_0
	v_add_u32_sdwa v6, sext(v0), v13 dst_sel:DWORD dst_unused:UNUSED_PAD src0_sel:WORD_1 src1_sel:DWORD
	v_lshlrev_b32_sdwa v7, v13, sext(v0) dst_sel:DWORD dst_unused:UNUSED_PAD src0_sel:DWORD src1_sel:WORD_1
	v_add_u32_sdwa v8, sext(v1), v13 dst_sel:DWORD dst_unused:UNUSED_PAD src0_sel:WORD_0 src1_sel:DWORD
	v_lshlrev_b32_sdwa v9, v13, sext(v1) dst_sel:DWORD dst_unused:UNUSED_PAD src0_sel:DWORD src1_sel:WORD_0
	v_add_u32_sdwa v10, sext(v1), v13 dst_sel:DWORD dst_unused:UNUSED_PAD src0_sel:WORD_1 src1_sel:DWORD
	v_lshlrev_b32_sdwa v11, v13, sext(v1) dst_sel:DWORD dst_unused:UNUSED_PAD src0_sel:DWORD src1_sel:WORD_1
	;; [unrolled: 4-line block ×3, first 2 shown]
	s_waitcnt lgkmcnt(0)
	v_add_u32_e32 v17, 1, v3
	v_lshlrev_b32_e32 v18, 1, v3
	v_cvt_f32_i32_e32 v1, v5
	v_cvt_f32_i32_e32 v0, v4
	;; [unrolled: 1-line block ×14, first 2 shown]
	global_store_dwordx4 v14, v[0:3], s[0:1]
	global_store_dwordx4 v14, v[4:7], s[0:1] offset:16
	global_store_dwordx4 v14, v[8:11], s[0:1] offset:32
	global_store_dwordx2 v14, v[12:13], s[0:1] offset:48
	s_endpgm
	.section	.rodata,"a",@progbits
	.p2align	6, 0x0
	.amdhsa_kernel _Z25scatter_to_blocked_kernelIs5dummyIfELj896ELj7EEvPT_PT0_Pj
		.amdhsa_group_segment_fixed_size 1792
		.amdhsa_private_segment_fixed_size 0
		.amdhsa_kernarg_size 24
		.amdhsa_user_sgpr_count 6
		.amdhsa_user_sgpr_private_segment_buffer 1
		.amdhsa_user_sgpr_dispatch_ptr 0
		.amdhsa_user_sgpr_queue_ptr 0
		.amdhsa_user_sgpr_kernarg_segment_ptr 1
		.amdhsa_user_sgpr_dispatch_id 0
		.amdhsa_user_sgpr_flat_scratch_init 0
		.amdhsa_user_sgpr_kernarg_preload_length 0
		.amdhsa_user_sgpr_kernarg_preload_offset 0
		.amdhsa_user_sgpr_private_segment_size 0
		.amdhsa_uses_dynamic_stack 0
		.amdhsa_system_sgpr_private_segment_wavefront_offset 0
		.amdhsa_system_sgpr_workgroup_id_x 1
		.amdhsa_system_sgpr_workgroup_id_y 0
		.amdhsa_system_sgpr_workgroup_id_z 0
		.amdhsa_system_sgpr_workgroup_info 0
		.amdhsa_system_vgpr_workitem_id 0
		.amdhsa_next_free_vgpr 19
		.amdhsa_next_free_sgpr 10
		.amdhsa_accum_offset 20
		.amdhsa_reserve_vcc 0
		.amdhsa_reserve_flat_scratch 0
		.amdhsa_float_round_mode_32 0
		.amdhsa_float_round_mode_16_64 0
		.amdhsa_float_denorm_mode_32 3
		.amdhsa_float_denorm_mode_16_64 3
		.amdhsa_dx10_clamp 1
		.amdhsa_ieee_mode 1
		.amdhsa_fp16_overflow 0
		.amdhsa_tg_split 0
		.amdhsa_exception_fp_ieee_invalid_op 0
		.amdhsa_exception_fp_denorm_src 0
		.amdhsa_exception_fp_ieee_div_zero 0
		.amdhsa_exception_fp_ieee_overflow 0
		.amdhsa_exception_fp_ieee_underflow 0
		.amdhsa_exception_fp_ieee_inexact 0
		.amdhsa_exception_int_div_zero 0
	.end_amdhsa_kernel
	.section	.text._Z25scatter_to_blocked_kernelIs5dummyIfELj896ELj7EEvPT_PT0_Pj,"axG",@progbits,_Z25scatter_to_blocked_kernelIs5dummyIfELj896ELj7EEvPT_PT0_Pj,comdat
.Lfunc_end83:
	.size	_Z25scatter_to_blocked_kernelIs5dummyIfELj896ELj7EEvPT_PT0_Pj, .Lfunc_end83-_Z25scatter_to_blocked_kernelIs5dummyIfELj896ELj7EEvPT_PT0_Pj
                                        ; -- End function
	.section	.AMDGPU.csdata,"",@progbits
; Kernel info:
; codeLenInByte = 452
; NumSgprs: 14
; NumVgprs: 19
; NumAgprs: 0
; TotalNumVgprs: 19
; ScratchSize: 0
; MemoryBound: 0
; FloatMode: 240
; IeeeMode: 1
; LDSByteSize: 1792 bytes/workgroup (compile time only)
; SGPRBlocks: 1
; VGPRBlocks: 2
; NumSGPRsForWavesPerEU: 14
; NumVGPRsForWavesPerEU: 19
; AccumOffset: 20
; Occupancy: 8
; WaveLimiterHint : 0
; COMPUTE_PGM_RSRC2:SCRATCH_EN: 0
; COMPUTE_PGM_RSRC2:USER_SGPR: 6
; COMPUTE_PGM_RSRC2:TRAP_HANDLER: 0
; COMPUTE_PGM_RSRC2:TGID_X_EN: 1
; COMPUTE_PGM_RSRC2:TGID_Y_EN: 0
; COMPUTE_PGM_RSRC2:TGID_Z_EN: 0
; COMPUTE_PGM_RSRC2:TIDIG_COMP_CNT: 0
; COMPUTE_PGM_RSRC3_GFX90A:ACCUM_OFFSET: 4
; COMPUTE_PGM_RSRC3_GFX90A:TG_SPLIT: 0
	.section	.text._Z25scatter_to_blocked_kernelIiiLj2560ELj5EEvPT_PT0_Pj,"axG",@progbits,_Z25scatter_to_blocked_kernelIiiLj2560ELj5EEvPT_PT0_Pj,comdat
	.protected	_Z25scatter_to_blocked_kernelIiiLj2560ELj5EEvPT_PT0_Pj ; -- Begin function _Z25scatter_to_blocked_kernelIiiLj2560ELj5EEvPT_PT0_Pj
	.globl	_Z25scatter_to_blocked_kernelIiiLj2560ELj5EEvPT_PT0_Pj
	.p2align	8
	.type	_Z25scatter_to_blocked_kernelIiiLj2560ELj5EEvPT_PT0_Pj,@function
_Z25scatter_to_blocked_kernelIiiLj2560ELj5EEvPT_PT0_Pj: ; @_Z25scatter_to_blocked_kernelIiiLj2560ELj5EEvPT_PT0_Pj
; %bb.0:
	s_load_dwordx4 s[0:3], s[4:5], 0x0
	s_load_dwordx2 s[8:9], s[4:5], 0x10
	s_mul_i32 s4, s6, 0xa00
	s_mov_b32 s5, 0
	s_lshl_b64 s[4:5], s[4:5], 2
	s_waitcnt lgkmcnt(0)
	s_add_u32 s0, s0, s4
	s_addc_u32 s1, s1, s5
	v_mul_u32_u24_e32 v0, 5, v0
	s_add_u32 s6, s8, s4
	v_lshlrev_b32_e32 v8, 2, v0
	s_addc_u32 s7, s9, s5
	global_load_dwordx4 v[0:3], v8, s[6:7]
	global_load_dword v9, v8, s[6:7] offset:16
	global_load_dwordx4 v[4:7], v8, s[0:1]
	global_load_dword v10, v8, s[0:1] offset:16
	s_add_u32 s0, s2, s4
	s_addc_u32 s1, s3, s5
	s_waitcnt vmcnt(3)
	v_lshlrev_b32_e32 v0, 2, v0
	v_lshlrev_b32_e32 v1, 2, v1
	;; [unrolled: 1-line block ×4, first 2 shown]
	s_waitcnt vmcnt(2)
	v_lshlrev_b32_e32 v9, 2, v9
	s_waitcnt vmcnt(1)
	ds_write_b32 v0, v4
	ds_write_b32 v1, v5
	;; [unrolled: 1-line block ×4, first 2 shown]
	s_waitcnt vmcnt(0)
	ds_write_b32 v9, v10
	s_waitcnt lgkmcnt(0)
	s_barrier
	ds_read2_b32 v[0:1], v8 offset1:1
	ds_read2_b32 v[2:3], v8 offset0:2 offset1:3
	ds_read_b32 v4, v8 offset:16
	s_waitcnt lgkmcnt(1)
	global_store_dwordx4 v8, v[0:3], s[0:1]
	s_waitcnt lgkmcnt(0)
	global_store_dword v8, v4, s[0:1] offset:16
	s_endpgm
	.section	.rodata,"a",@progbits
	.p2align	6, 0x0
	.amdhsa_kernel _Z25scatter_to_blocked_kernelIiiLj2560ELj5EEvPT_PT0_Pj
		.amdhsa_group_segment_fixed_size 10240
		.amdhsa_private_segment_fixed_size 0
		.amdhsa_kernarg_size 24
		.amdhsa_user_sgpr_count 6
		.amdhsa_user_sgpr_private_segment_buffer 1
		.amdhsa_user_sgpr_dispatch_ptr 0
		.amdhsa_user_sgpr_queue_ptr 0
		.amdhsa_user_sgpr_kernarg_segment_ptr 1
		.amdhsa_user_sgpr_dispatch_id 0
		.amdhsa_user_sgpr_flat_scratch_init 0
		.amdhsa_user_sgpr_kernarg_preload_length 0
		.amdhsa_user_sgpr_kernarg_preload_offset 0
		.amdhsa_user_sgpr_private_segment_size 0
		.amdhsa_uses_dynamic_stack 0
		.amdhsa_system_sgpr_private_segment_wavefront_offset 0
		.amdhsa_system_sgpr_workgroup_id_x 1
		.amdhsa_system_sgpr_workgroup_id_y 0
		.amdhsa_system_sgpr_workgroup_id_z 0
		.amdhsa_system_sgpr_workgroup_info 0
		.amdhsa_system_vgpr_workitem_id 0
		.amdhsa_next_free_vgpr 11
		.amdhsa_next_free_sgpr 10
		.amdhsa_accum_offset 12
		.amdhsa_reserve_vcc 0
		.amdhsa_reserve_flat_scratch 0
		.amdhsa_float_round_mode_32 0
		.amdhsa_float_round_mode_16_64 0
		.amdhsa_float_denorm_mode_32 3
		.amdhsa_float_denorm_mode_16_64 3
		.amdhsa_dx10_clamp 1
		.amdhsa_ieee_mode 1
		.amdhsa_fp16_overflow 0
		.amdhsa_tg_split 0
		.amdhsa_exception_fp_ieee_invalid_op 0
		.amdhsa_exception_fp_denorm_src 0
		.amdhsa_exception_fp_ieee_div_zero 0
		.amdhsa_exception_fp_ieee_overflow 0
		.amdhsa_exception_fp_ieee_underflow 0
		.amdhsa_exception_fp_ieee_inexact 0
		.amdhsa_exception_int_div_zero 0
	.end_amdhsa_kernel
	.section	.text._Z25scatter_to_blocked_kernelIiiLj2560ELj5EEvPT_PT0_Pj,"axG",@progbits,_Z25scatter_to_blocked_kernelIiiLj2560ELj5EEvPT_PT0_Pj,comdat
.Lfunc_end84:
	.size	_Z25scatter_to_blocked_kernelIiiLj2560ELj5EEvPT_PT0_Pj, .Lfunc_end84-_Z25scatter_to_blocked_kernelIiiLj2560ELj5EEvPT_PT0_Pj
                                        ; -- End function
	.section	.AMDGPU.csdata,"",@progbits
; Kernel info:
; codeLenInByte = 236
; NumSgprs: 14
; NumVgprs: 11
; NumAgprs: 0
; TotalNumVgprs: 11
; ScratchSize: 0
; MemoryBound: 0
; FloatMode: 240
; IeeeMode: 1
; LDSByteSize: 10240 bytes/workgroup (compile time only)
; SGPRBlocks: 1
; VGPRBlocks: 1
; NumSGPRsForWavesPerEU: 14
; NumVGPRsForWavesPerEU: 11
; AccumOffset: 12
; Occupancy: 8
; WaveLimiterHint : 0
; COMPUTE_PGM_RSRC2:SCRATCH_EN: 0
; COMPUTE_PGM_RSRC2:USER_SGPR: 6
; COMPUTE_PGM_RSRC2:TRAP_HANDLER: 0
; COMPUTE_PGM_RSRC2:TGID_X_EN: 1
; COMPUTE_PGM_RSRC2:TGID_Y_EN: 0
; COMPUTE_PGM_RSRC2:TGID_Z_EN: 0
; COMPUTE_PGM_RSRC2:TIDIG_COMP_CNT: 0
; COMPUTE_PGM_RSRC3_GFX90A:ACCUM_OFFSET: 2
; COMPUTE_PGM_RSRC3_GFX90A:TG_SPLIT: 0
	.section	.text._Z25scatter_to_blocked_kernelIxxLj1024ELj4EEvPT_PT0_Pj,"axG",@progbits,_Z25scatter_to_blocked_kernelIxxLj1024ELj4EEvPT_PT0_Pj,comdat
	.protected	_Z25scatter_to_blocked_kernelIxxLj1024ELj4EEvPT_PT0_Pj ; -- Begin function _Z25scatter_to_blocked_kernelIxxLj1024ELj4EEvPT_PT0_Pj
	.globl	_Z25scatter_to_blocked_kernelIxxLj1024ELj4EEvPT_PT0_Pj
	.p2align	8
	.type	_Z25scatter_to_blocked_kernelIxxLj1024ELj4EEvPT_PT0_Pj,@function
_Z25scatter_to_blocked_kernelIxxLj1024ELj4EEvPT_PT0_Pj: ; @_Z25scatter_to_blocked_kernelIxxLj1024ELj4EEvPT_PT0_Pj
; %bb.0:
	s_load_dwordx4 s[0:3], s[4:5], 0x0
	s_load_dwordx2 s[8:9], s[4:5], 0x10
	s_lshl_b32 s4, s6, 10
	s_mov_b32 s5, 0
	s_lshl_b64 s[6:7], s[4:5], 3
	s_waitcnt lgkmcnt(0)
	s_add_u32 s0, s0, s6
	s_addc_u32 s1, s1, s7
	s_lshl_b64 s[4:5], s[4:5], 2
	s_add_u32 s4, s8, s4
	s_addc_u32 s5, s9, s5
	v_lshlrev_b32_e32 v1, 4, v0
	global_load_dwordx4 v[2:5], v1, s[4:5]
	v_lshlrev_b32_e32 v14, 5, v0
	global_load_dwordx4 v[6:9], v14, s[0:1]
	global_load_dwordx4 v[10:13], v14, s[0:1] offset:16
	v_lshlrev_b32_e32 v1, 2, v0
	v_lshrrev_b32_e32 v0, 3, v0
	v_add_lshl_u32 v15, v0, v1, 3
	s_add_u32 s0, s2, s6
	s_addc_u32 s1, s3, s7
	s_waitcnt vmcnt(2)
	v_lshrrev_b32_e32 v0, 5, v3
	v_lshrrev_b32_e32 v1, 5, v2
	;; [unrolled: 1-line block ×4, first 2 shown]
	v_add_lshl_u32 v1, v1, v2, 3
	v_add_lshl_u32 v0, v0, v3, 3
	;; [unrolled: 1-line block ×4, first 2 shown]
	s_waitcnt vmcnt(1)
	ds_write_b64 v1, v[6:7]
	ds_write_b64 v0, v[8:9]
	s_waitcnt vmcnt(0)
	ds_write_b64 v2, v[10:11]
	ds_write_b64 v3, v[12:13]
	s_waitcnt lgkmcnt(0)
	s_barrier
	ds_read2_b64 v[0:3], v15 offset1:1
	ds_read2_b64 v[4:7], v15 offset0:2 offset1:3
	s_waitcnt lgkmcnt(1)
	global_store_dwordx4 v14, v[0:3], s[0:1]
	s_waitcnt lgkmcnt(0)
	global_store_dwordx4 v14, v[4:7], s[0:1] offset:16
	s_endpgm
	.section	.rodata,"a",@progbits
	.p2align	6, 0x0
	.amdhsa_kernel _Z25scatter_to_blocked_kernelIxxLj1024ELj4EEvPT_PT0_Pj
		.amdhsa_group_segment_fixed_size 8448
		.amdhsa_private_segment_fixed_size 0
		.amdhsa_kernarg_size 24
		.amdhsa_user_sgpr_count 6
		.amdhsa_user_sgpr_private_segment_buffer 1
		.amdhsa_user_sgpr_dispatch_ptr 0
		.amdhsa_user_sgpr_queue_ptr 0
		.amdhsa_user_sgpr_kernarg_segment_ptr 1
		.amdhsa_user_sgpr_dispatch_id 0
		.amdhsa_user_sgpr_flat_scratch_init 0
		.amdhsa_user_sgpr_kernarg_preload_length 0
		.amdhsa_user_sgpr_kernarg_preload_offset 0
		.amdhsa_user_sgpr_private_segment_size 0
		.amdhsa_uses_dynamic_stack 0
		.amdhsa_system_sgpr_private_segment_wavefront_offset 0
		.amdhsa_system_sgpr_workgroup_id_x 1
		.amdhsa_system_sgpr_workgroup_id_y 0
		.amdhsa_system_sgpr_workgroup_id_z 0
		.amdhsa_system_sgpr_workgroup_info 0
		.amdhsa_system_vgpr_workitem_id 0
		.amdhsa_next_free_vgpr 18
		.amdhsa_next_free_sgpr 10
		.amdhsa_accum_offset 20
		.amdhsa_reserve_vcc 0
		.amdhsa_reserve_flat_scratch 0
		.amdhsa_float_round_mode_32 0
		.amdhsa_float_round_mode_16_64 0
		.amdhsa_float_denorm_mode_32 3
		.amdhsa_float_denorm_mode_16_64 3
		.amdhsa_dx10_clamp 1
		.amdhsa_ieee_mode 1
		.amdhsa_fp16_overflow 0
		.amdhsa_tg_split 0
		.amdhsa_exception_fp_ieee_invalid_op 0
		.amdhsa_exception_fp_denorm_src 0
		.amdhsa_exception_fp_ieee_div_zero 0
		.amdhsa_exception_fp_ieee_overflow 0
		.amdhsa_exception_fp_ieee_underflow 0
		.amdhsa_exception_fp_ieee_inexact 0
		.amdhsa_exception_int_div_zero 0
	.end_amdhsa_kernel
	.section	.text._Z25scatter_to_blocked_kernelIxxLj1024ELj4EEvPT_PT0_Pj,"axG",@progbits,_Z25scatter_to_blocked_kernelIxxLj1024ELj4EEvPT_PT0_Pj,comdat
.Lfunc_end85:
	.size	_Z25scatter_to_blocked_kernelIxxLj1024ELj4EEvPT_PT0_Pj, .Lfunc_end85-_Z25scatter_to_blocked_kernelIxxLj1024ELj4EEvPT_PT0_Pj
                                        ; -- End function
	.section	.AMDGPU.csdata,"",@progbits
; Kernel info:
; codeLenInByte = 252
; NumSgprs: 14
; NumVgprs: 18
; NumAgprs: 0
; TotalNumVgprs: 18
; ScratchSize: 0
; MemoryBound: 0
; FloatMode: 240
; IeeeMode: 1
; LDSByteSize: 8448 bytes/workgroup (compile time only)
; SGPRBlocks: 1
; VGPRBlocks: 2
; NumSGPRsForWavesPerEU: 14
; NumVGPRsForWavesPerEU: 18
; AccumOffset: 20
; Occupancy: 8
; WaveLimiterHint : 0
; COMPUTE_PGM_RSRC2:SCRATCH_EN: 0
; COMPUTE_PGM_RSRC2:USER_SGPR: 6
; COMPUTE_PGM_RSRC2:TRAP_HANDLER: 0
; COMPUTE_PGM_RSRC2:TGID_X_EN: 1
; COMPUTE_PGM_RSRC2:TGID_Y_EN: 0
; COMPUTE_PGM_RSRC2:TGID_Z_EN: 0
; COMPUTE_PGM_RSRC2:TIDIG_COMP_CNT: 0
; COMPUTE_PGM_RSRC3_GFX90A:ACCUM_OFFSET: 4
; COMPUTE_PGM_RSRC3_GFX90A:TG_SPLIT: 0
	.section	.text._Z25scatter_to_blocked_kernelIiiLj128ELj2EEvPT_PT0_Pj,"axG",@progbits,_Z25scatter_to_blocked_kernelIiiLj128ELj2EEvPT_PT0_Pj,comdat
	.protected	_Z25scatter_to_blocked_kernelIiiLj128ELj2EEvPT_PT0_Pj ; -- Begin function _Z25scatter_to_blocked_kernelIiiLj128ELj2EEvPT_PT0_Pj
	.globl	_Z25scatter_to_blocked_kernelIiiLj128ELj2EEvPT_PT0_Pj
	.p2align	8
	.type	_Z25scatter_to_blocked_kernelIiiLj128ELj2EEvPT_PT0_Pj,@function
_Z25scatter_to_blocked_kernelIiiLj128ELj2EEvPT_PT0_Pj: ; @_Z25scatter_to_blocked_kernelIiiLj128ELj2EEvPT_PT0_Pj
; %bb.0:
	s_load_dwordx4 s[0:3], s[4:5], 0x0
	s_load_dwordx2 s[8:9], s[4:5], 0x10
	s_lshl_b32 s4, s6, 7
	s_mov_b32 s5, 0
	s_lshl_b64 s[4:5], s[4:5], 2
	s_waitcnt lgkmcnt(0)
	s_add_u32 s0, s0, s4
	s_addc_u32 s1, s1, s5
	s_add_u32 s6, s8, s4
	v_lshlrev_b32_e32 v6, 3, v0
	s_addc_u32 s7, s9, s5
	global_load_dwordx2 v[2:3], v6, s[6:7]
	global_load_dwordx2 v[4:5], v6, s[0:1]
	v_lshlrev_b32_e32 v1, 1, v0
	v_lshrrev_b32_e32 v0, 4, v0
	v_add_lshl_u32 v0, v0, v1, 2
	s_add_u32 s0, s2, s4
	s_addc_u32 s1, s3, s5
	s_waitcnt vmcnt(1)
	v_lshrrev_b32_e32 v1, 5, v3
	v_lshrrev_b32_e32 v7, 5, v2
	v_add_lshl_u32 v2, v7, v2, 2
	v_add_lshl_u32 v1, v1, v3, 2
	s_waitcnt vmcnt(0)
	ds_write_b32 v2, v4
	ds_write_b32 v1, v5
	s_waitcnt lgkmcnt(0)
	s_barrier
	ds_read2_b32 v[0:1], v0 offset1:1
	s_waitcnt lgkmcnt(0)
	global_store_dwordx2 v6, v[0:1], s[0:1]
	s_endpgm
	.section	.rodata,"a",@progbits
	.p2align	6, 0x0
	.amdhsa_kernel _Z25scatter_to_blocked_kernelIiiLj128ELj2EEvPT_PT0_Pj
		.amdhsa_group_segment_fixed_size 528
		.amdhsa_private_segment_fixed_size 0
		.amdhsa_kernarg_size 24
		.amdhsa_user_sgpr_count 6
		.amdhsa_user_sgpr_private_segment_buffer 1
		.amdhsa_user_sgpr_dispatch_ptr 0
		.amdhsa_user_sgpr_queue_ptr 0
		.amdhsa_user_sgpr_kernarg_segment_ptr 1
		.amdhsa_user_sgpr_dispatch_id 0
		.amdhsa_user_sgpr_flat_scratch_init 0
		.amdhsa_user_sgpr_kernarg_preload_length 0
		.amdhsa_user_sgpr_kernarg_preload_offset 0
		.amdhsa_user_sgpr_private_segment_size 0
		.amdhsa_uses_dynamic_stack 0
		.amdhsa_system_sgpr_private_segment_wavefront_offset 0
		.amdhsa_system_sgpr_workgroup_id_x 1
		.amdhsa_system_sgpr_workgroup_id_y 0
		.amdhsa_system_sgpr_workgroup_id_z 0
		.amdhsa_system_sgpr_workgroup_info 0
		.amdhsa_system_vgpr_workitem_id 0
		.amdhsa_next_free_vgpr 8
		.amdhsa_next_free_sgpr 10
		.amdhsa_accum_offset 8
		.amdhsa_reserve_vcc 0
		.amdhsa_reserve_flat_scratch 0
		.amdhsa_float_round_mode_32 0
		.amdhsa_float_round_mode_16_64 0
		.amdhsa_float_denorm_mode_32 3
		.amdhsa_float_denorm_mode_16_64 3
		.amdhsa_dx10_clamp 1
		.amdhsa_ieee_mode 1
		.amdhsa_fp16_overflow 0
		.amdhsa_tg_split 0
		.amdhsa_exception_fp_ieee_invalid_op 0
		.amdhsa_exception_fp_denorm_src 0
		.amdhsa_exception_fp_ieee_div_zero 0
		.amdhsa_exception_fp_ieee_overflow 0
		.amdhsa_exception_fp_ieee_underflow 0
		.amdhsa_exception_fp_ieee_inexact 0
		.amdhsa_exception_int_div_zero 0
	.end_amdhsa_kernel
	.section	.text._Z25scatter_to_blocked_kernelIiiLj128ELj2EEvPT_PT0_Pj,"axG",@progbits,_Z25scatter_to_blocked_kernelIiiLj128ELj2EEvPT_PT0_Pj,comdat
.Lfunc_end86:
	.size	_Z25scatter_to_blocked_kernelIiiLj128ELj2EEvPT_PT0_Pj, .Lfunc_end86-_Z25scatter_to_blocked_kernelIiiLj128ELj2EEvPT_PT0_Pj
                                        ; -- End function
	.section	.AMDGPU.csdata,"",@progbits
; Kernel info:
; codeLenInByte = 172
; NumSgprs: 14
; NumVgprs: 8
; NumAgprs: 0
; TotalNumVgprs: 8
; ScratchSize: 0
; MemoryBound: 0
; FloatMode: 240
; IeeeMode: 1
; LDSByteSize: 528 bytes/workgroup (compile time only)
; SGPRBlocks: 1
; VGPRBlocks: 0
; NumSGPRsForWavesPerEU: 14
; NumVGPRsForWavesPerEU: 8
; AccumOffset: 8
; Occupancy: 8
; WaveLimiterHint : 0
; COMPUTE_PGM_RSRC2:SCRATCH_EN: 0
; COMPUTE_PGM_RSRC2:USER_SGPR: 6
; COMPUTE_PGM_RSRC2:TRAP_HANDLER: 0
; COMPUTE_PGM_RSRC2:TGID_X_EN: 1
; COMPUTE_PGM_RSRC2:TGID_Y_EN: 0
; COMPUTE_PGM_RSRC2:TGID_Z_EN: 0
; COMPUTE_PGM_RSRC2:TIDIG_COMP_CNT: 0
; COMPUTE_PGM_RSRC3_GFX90A:ACCUM_OFFSET: 1
; COMPUTE_PGM_RSRC3_GFX90A:TG_SPLIT: 0
	.section	.text._Z25scatter_to_blocked_kernelIxxLj512ELj1EEvPT_PT0_Pj,"axG",@progbits,_Z25scatter_to_blocked_kernelIxxLj512ELj1EEvPT_PT0_Pj,comdat
	.protected	_Z25scatter_to_blocked_kernelIxxLj512ELj1EEvPT_PT0_Pj ; -- Begin function _Z25scatter_to_blocked_kernelIxxLj512ELj1EEvPT_PT0_Pj
	.globl	_Z25scatter_to_blocked_kernelIxxLj512ELj1EEvPT_PT0_Pj
	.p2align	8
	.type	_Z25scatter_to_blocked_kernelIxxLj512ELj1EEvPT_PT0_Pj,@function
_Z25scatter_to_blocked_kernelIxxLj512ELj1EEvPT_PT0_Pj: ; @_Z25scatter_to_blocked_kernelIxxLj512ELj1EEvPT_PT0_Pj
; %bb.0:
	s_load_dwordx4 s[0:3], s[4:5], 0x0
	s_load_dwordx2 s[8:9], s[4:5], 0x10
	s_lshl_b32 s4, s6, 9
	s_mov_b32 s5, 0
	s_lshl_b64 s[6:7], s[4:5], 3
	s_waitcnt lgkmcnt(0)
	s_add_u32 s0, s0, s6
	s_addc_u32 s1, s1, s7
	s_lshl_b64 s[4:5], s[4:5], 2
	s_add_u32 s4, s8, s4
	s_addc_u32 s5, s9, s5
	v_lshlrev_b32_e32 v3, 2, v0
	v_lshlrev_b32_e32 v2, 3, v0
	global_load_dword v4, v3, s[4:5]
	global_load_dwordx2 v[0:1], v2, s[0:1]
	s_add_u32 s0, s2, s6
	s_addc_u32 s1, s3, s7
	s_waitcnt vmcnt(1)
	v_lshlrev_b32_e32 v3, 3, v4
	s_waitcnt vmcnt(0)
	ds_write_b64 v3, v[0:1]
	s_waitcnt lgkmcnt(0)
	s_barrier
	ds_read_b64 v[0:1], v2
	s_waitcnt lgkmcnt(0)
	global_store_dwordx2 v2, v[0:1], s[0:1]
	s_endpgm
	.section	.rodata,"a",@progbits
	.p2align	6, 0x0
	.amdhsa_kernel _Z25scatter_to_blocked_kernelIxxLj512ELj1EEvPT_PT0_Pj
		.amdhsa_group_segment_fixed_size 4096
		.amdhsa_private_segment_fixed_size 0
		.amdhsa_kernarg_size 24
		.amdhsa_user_sgpr_count 6
		.amdhsa_user_sgpr_private_segment_buffer 1
		.amdhsa_user_sgpr_dispatch_ptr 0
		.amdhsa_user_sgpr_queue_ptr 0
		.amdhsa_user_sgpr_kernarg_segment_ptr 1
		.amdhsa_user_sgpr_dispatch_id 0
		.amdhsa_user_sgpr_flat_scratch_init 0
		.amdhsa_user_sgpr_kernarg_preload_length 0
		.amdhsa_user_sgpr_kernarg_preload_offset 0
		.amdhsa_user_sgpr_private_segment_size 0
		.amdhsa_uses_dynamic_stack 0
		.amdhsa_system_sgpr_private_segment_wavefront_offset 0
		.amdhsa_system_sgpr_workgroup_id_x 1
		.amdhsa_system_sgpr_workgroup_id_y 0
		.amdhsa_system_sgpr_workgroup_id_z 0
		.amdhsa_system_sgpr_workgroup_info 0
		.amdhsa_system_vgpr_workitem_id 0
		.amdhsa_next_free_vgpr 5
		.amdhsa_next_free_sgpr 10
		.amdhsa_accum_offset 8
		.amdhsa_reserve_vcc 0
		.amdhsa_reserve_flat_scratch 0
		.amdhsa_float_round_mode_32 0
		.amdhsa_float_round_mode_16_64 0
		.amdhsa_float_denorm_mode_32 3
		.amdhsa_float_denorm_mode_16_64 3
		.amdhsa_dx10_clamp 1
		.amdhsa_ieee_mode 1
		.amdhsa_fp16_overflow 0
		.amdhsa_tg_split 0
		.amdhsa_exception_fp_ieee_invalid_op 0
		.amdhsa_exception_fp_denorm_src 0
		.amdhsa_exception_fp_ieee_div_zero 0
		.amdhsa_exception_fp_ieee_overflow 0
		.amdhsa_exception_fp_ieee_underflow 0
		.amdhsa_exception_fp_ieee_inexact 0
		.amdhsa_exception_int_div_zero 0
	.end_amdhsa_kernel
	.section	.text._Z25scatter_to_blocked_kernelIxxLj512ELj1EEvPT_PT0_Pj,"axG",@progbits,_Z25scatter_to_blocked_kernelIxxLj512ELj1EEvPT_PT0_Pj,comdat
.Lfunc_end87:
	.size	_Z25scatter_to_blocked_kernelIxxLj512ELj1EEvPT_PT0_Pj, .Lfunc_end87-_Z25scatter_to_blocked_kernelIxxLj512ELj1EEvPT_PT0_Pj
                                        ; -- End function
	.section	.AMDGPU.csdata,"",@progbits
; Kernel info:
; codeLenInByte = 136
; NumSgprs: 14
; NumVgprs: 5
; NumAgprs: 0
; TotalNumVgprs: 5
; ScratchSize: 0
; MemoryBound: 0
; FloatMode: 240
; IeeeMode: 1
; LDSByteSize: 4096 bytes/workgroup (compile time only)
; SGPRBlocks: 1
; VGPRBlocks: 0
; NumSGPRsForWavesPerEU: 14
; NumVGPRsForWavesPerEU: 5
; AccumOffset: 8
; Occupancy: 8
; WaveLimiterHint : 0
; COMPUTE_PGM_RSRC2:SCRATCH_EN: 0
; COMPUTE_PGM_RSRC2:USER_SGPR: 6
; COMPUTE_PGM_RSRC2:TRAP_HANDLER: 0
; COMPUTE_PGM_RSRC2:TGID_X_EN: 1
; COMPUTE_PGM_RSRC2:TGID_Y_EN: 0
; COMPUTE_PGM_RSRC2:TGID_Z_EN: 0
; COMPUTE_PGM_RSRC2:TIDIG_COMP_CNT: 0
; COMPUTE_PGM_RSRC3_GFX90A:ACCUM_OFFSET: 1
; COMPUTE_PGM_RSRC3_GFX90A:TG_SPLIT: 0
	.section	.text._Z25scatter_to_blocked_kernelIs5dummyIiELj256ELj1EEvPT_PT0_Pj,"axG",@progbits,_Z25scatter_to_blocked_kernelIs5dummyIiELj256ELj1EEvPT_PT0_Pj,comdat
	.protected	_Z25scatter_to_blocked_kernelIs5dummyIiELj256ELj1EEvPT_PT0_Pj ; -- Begin function _Z25scatter_to_blocked_kernelIs5dummyIiELj256ELj1EEvPT_PT0_Pj
	.globl	_Z25scatter_to_blocked_kernelIs5dummyIiELj256ELj1EEvPT_PT0_Pj
	.p2align	8
	.type	_Z25scatter_to_blocked_kernelIs5dummyIiELj256ELj1EEvPT_PT0_Pj,@function
_Z25scatter_to_blocked_kernelIs5dummyIiELj256ELj1EEvPT_PT0_Pj: ; @_Z25scatter_to_blocked_kernelIs5dummyIiELj256ELj1EEvPT_PT0_Pj
; %bb.0:
	s_load_dwordx4 s[0:3], s[4:5], 0x0
	s_load_dwordx2 s[8:9], s[4:5], 0x10
	s_lshl_b32 s4, s6, 8
	s_mov_b32 s5, 0
	s_lshl_b64 s[6:7], s[4:5], 1
	s_waitcnt lgkmcnt(0)
	s_add_u32 s0, s0, s6
	s_addc_u32 s1, s1, s7
	s_lshl_b64 s[6:7], s[4:5], 2
	s_add_u32 s6, s8, s6
	s_addc_u32 s7, s9, s7
	v_lshlrev_b32_e32 v2, 2, v0
	v_lshlrev_b32_e32 v1, 1, v0
	global_load_dword v3, v2, s[6:7]
	global_load_ushort v4, v1, s[0:1]
	s_lshl_b64 s[0:1], s[4:5], 3
	s_add_u32 s0, s2, s0
	s_addc_u32 s1, s3, s1
	v_lshlrev_b32_e32 v0, 3, v0
	s_waitcnt vmcnt(1)
	v_lshlrev_b32_e32 v2, 1, v3
	s_waitcnt vmcnt(0)
	ds_write_b16 v2, v4
	s_waitcnt lgkmcnt(0)
	s_barrier
	ds_read_i16 v1, v1
	s_waitcnt lgkmcnt(0)
	v_lshlrev_b32_e32 v3, 1, v1
	v_add_u32_e32 v2, 1, v1
	global_store_dwordx2 v0, v[2:3], s[0:1]
	s_endpgm
	.section	.rodata,"a",@progbits
	.p2align	6, 0x0
	.amdhsa_kernel _Z25scatter_to_blocked_kernelIs5dummyIiELj256ELj1EEvPT_PT0_Pj
		.amdhsa_group_segment_fixed_size 512
		.amdhsa_private_segment_fixed_size 0
		.amdhsa_kernarg_size 24
		.amdhsa_user_sgpr_count 6
		.amdhsa_user_sgpr_private_segment_buffer 1
		.amdhsa_user_sgpr_dispatch_ptr 0
		.amdhsa_user_sgpr_queue_ptr 0
		.amdhsa_user_sgpr_kernarg_segment_ptr 1
		.amdhsa_user_sgpr_dispatch_id 0
		.amdhsa_user_sgpr_flat_scratch_init 0
		.amdhsa_user_sgpr_kernarg_preload_length 0
		.amdhsa_user_sgpr_kernarg_preload_offset 0
		.amdhsa_user_sgpr_private_segment_size 0
		.amdhsa_uses_dynamic_stack 0
		.amdhsa_system_sgpr_private_segment_wavefront_offset 0
		.amdhsa_system_sgpr_workgroup_id_x 1
		.amdhsa_system_sgpr_workgroup_id_y 0
		.amdhsa_system_sgpr_workgroup_id_z 0
		.amdhsa_system_sgpr_workgroup_info 0
		.amdhsa_system_vgpr_workitem_id 0
		.amdhsa_next_free_vgpr 5
		.amdhsa_next_free_sgpr 10
		.amdhsa_accum_offset 8
		.amdhsa_reserve_vcc 0
		.amdhsa_reserve_flat_scratch 0
		.amdhsa_float_round_mode_32 0
		.amdhsa_float_round_mode_16_64 0
		.amdhsa_float_denorm_mode_32 3
		.amdhsa_float_denorm_mode_16_64 3
		.amdhsa_dx10_clamp 1
		.amdhsa_ieee_mode 1
		.amdhsa_fp16_overflow 0
		.amdhsa_tg_split 0
		.amdhsa_exception_fp_ieee_invalid_op 0
		.amdhsa_exception_fp_denorm_src 0
		.amdhsa_exception_fp_ieee_div_zero 0
		.amdhsa_exception_fp_ieee_overflow 0
		.amdhsa_exception_fp_ieee_underflow 0
		.amdhsa_exception_fp_ieee_inexact 0
		.amdhsa_exception_int_div_zero 0
	.end_amdhsa_kernel
	.section	.text._Z25scatter_to_blocked_kernelIs5dummyIiELj256ELj1EEvPT_PT0_Pj,"axG",@progbits,_Z25scatter_to_blocked_kernelIs5dummyIiELj256ELj1EEvPT_PT0_Pj,comdat
.Lfunc_end88:
	.size	_Z25scatter_to_blocked_kernelIs5dummyIiELj256ELj1EEvPT_PT0_Pj, .Lfunc_end88-_Z25scatter_to_blocked_kernelIs5dummyIiELj256ELj1EEvPT_PT0_Pj
                                        ; -- End function
	.section	.AMDGPU.csdata,"",@progbits
; Kernel info:
; codeLenInByte = 152
; NumSgprs: 14
; NumVgprs: 5
; NumAgprs: 0
; TotalNumVgprs: 5
; ScratchSize: 0
; MemoryBound: 0
; FloatMode: 240
; IeeeMode: 1
; LDSByteSize: 512 bytes/workgroup (compile time only)
; SGPRBlocks: 1
; VGPRBlocks: 0
; NumSGPRsForWavesPerEU: 14
; NumVGPRsForWavesPerEU: 5
; AccumOffset: 8
; Occupancy: 8
; WaveLimiterHint : 0
; COMPUTE_PGM_RSRC2:SCRATCH_EN: 0
; COMPUTE_PGM_RSRC2:USER_SGPR: 6
; COMPUTE_PGM_RSRC2:TRAP_HANDLER: 0
; COMPUTE_PGM_RSRC2:TGID_X_EN: 1
; COMPUTE_PGM_RSRC2:TGID_Y_EN: 0
; COMPUTE_PGM_RSRC2:TGID_Z_EN: 0
; COMPUTE_PGM_RSRC2:TIDIG_COMP_CNT: 0
; COMPUTE_PGM_RSRC3_GFX90A:ACCUM_OFFSET: 1
; COMPUTE_PGM_RSRC3_GFX90A:TG_SPLIT: 0
	.section	.text._Z25scatter_to_blocked_kernelIyyLj128ELj1EEvPT_PT0_Pj,"axG",@progbits,_Z25scatter_to_blocked_kernelIyyLj128ELj1EEvPT_PT0_Pj,comdat
	.protected	_Z25scatter_to_blocked_kernelIyyLj128ELj1EEvPT_PT0_Pj ; -- Begin function _Z25scatter_to_blocked_kernelIyyLj128ELj1EEvPT_PT0_Pj
	.globl	_Z25scatter_to_blocked_kernelIyyLj128ELj1EEvPT_PT0_Pj
	.p2align	8
	.type	_Z25scatter_to_blocked_kernelIyyLj128ELj1EEvPT_PT0_Pj,@function
_Z25scatter_to_blocked_kernelIyyLj128ELj1EEvPT_PT0_Pj: ; @_Z25scatter_to_blocked_kernelIyyLj128ELj1EEvPT_PT0_Pj
; %bb.0:
	s_load_dwordx4 s[0:3], s[4:5], 0x0
	s_load_dwordx2 s[8:9], s[4:5], 0x10
	s_lshl_b32 s4, s6, 7
	s_mov_b32 s5, 0
	s_lshl_b64 s[6:7], s[4:5], 3
	s_waitcnt lgkmcnt(0)
	s_add_u32 s0, s0, s6
	s_addc_u32 s1, s1, s7
	s_lshl_b64 s[4:5], s[4:5], 2
	s_add_u32 s4, s8, s4
	s_addc_u32 s5, s9, s5
	v_lshlrev_b32_e32 v3, 2, v0
	v_lshlrev_b32_e32 v2, 3, v0
	global_load_dword v4, v3, s[4:5]
	global_load_dwordx2 v[0:1], v2, s[0:1]
	s_add_u32 s0, s2, s6
	s_addc_u32 s1, s3, s7
	s_waitcnt vmcnt(1)
	v_lshlrev_b32_e32 v3, 3, v4
	s_waitcnt vmcnt(0)
	ds_write_b64 v3, v[0:1]
	s_waitcnt lgkmcnt(0)
	s_barrier
	ds_read_b64 v[0:1], v2
	s_waitcnt lgkmcnt(0)
	global_store_dwordx2 v2, v[0:1], s[0:1]
	s_endpgm
	.section	.rodata,"a",@progbits
	.p2align	6, 0x0
	.amdhsa_kernel _Z25scatter_to_blocked_kernelIyyLj128ELj1EEvPT_PT0_Pj
		.amdhsa_group_segment_fixed_size 1024
		.amdhsa_private_segment_fixed_size 0
		.amdhsa_kernarg_size 24
		.amdhsa_user_sgpr_count 6
		.amdhsa_user_sgpr_private_segment_buffer 1
		.amdhsa_user_sgpr_dispatch_ptr 0
		.amdhsa_user_sgpr_queue_ptr 0
		.amdhsa_user_sgpr_kernarg_segment_ptr 1
		.amdhsa_user_sgpr_dispatch_id 0
		.amdhsa_user_sgpr_flat_scratch_init 0
		.amdhsa_user_sgpr_kernarg_preload_length 0
		.amdhsa_user_sgpr_kernarg_preload_offset 0
		.amdhsa_user_sgpr_private_segment_size 0
		.amdhsa_uses_dynamic_stack 0
		.amdhsa_system_sgpr_private_segment_wavefront_offset 0
		.amdhsa_system_sgpr_workgroup_id_x 1
		.amdhsa_system_sgpr_workgroup_id_y 0
		.amdhsa_system_sgpr_workgroup_id_z 0
		.amdhsa_system_sgpr_workgroup_info 0
		.amdhsa_system_vgpr_workitem_id 0
		.amdhsa_next_free_vgpr 5
		.amdhsa_next_free_sgpr 10
		.amdhsa_accum_offset 8
		.amdhsa_reserve_vcc 0
		.amdhsa_reserve_flat_scratch 0
		.amdhsa_float_round_mode_32 0
		.amdhsa_float_round_mode_16_64 0
		.amdhsa_float_denorm_mode_32 3
		.amdhsa_float_denorm_mode_16_64 3
		.amdhsa_dx10_clamp 1
		.amdhsa_ieee_mode 1
		.amdhsa_fp16_overflow 0
		.amdhsa_tg_split 0
		.amdhsa_exception_fp_ieee_invalid_op 0
		.amdhsa_exception_fp_denorm_src 0
		.amdhsa_exception_fp_ieee_div_zero 0
		.amdhsa_exception_fp_ieee_overflow 0
		.amdhsa_exception_fp_ieee_underflow 0
		.amdhsa_exception_fp_ieee_inexact 0
		.amdhsa_exception_int_div_zero 0
	.end_amdhsa_kernel
	.section	.text._Z25scatter_to_blocked_kernelIyyLj128ELj1EEvPT_PT0_Pj,"axG",@progbits,_Z25scatter_to_blocked_kernelIyyLj128ELj1EEvPT_PT0_Pj,comdat
.Lfunc_end89:
	.size	_Z25scatter_to_blocked_kernelIyyLj128ELj1EEvPT_PT0_Pj, .Lfunc_end89-_Z25scatter_to_blocked_kernelIyyLj128ELj1EEvPT_PT0_Pj
                                        ; -- End function
	.section	.AMDGPU.csdata,"",@progbits
; Kernel info:
; codeLenInByte = 136
; NumSgprs: 14
; NumVgprs: 5
; NumAgprs: 0
; TotalNumVgprs: 5
; ScratchSize: 0
; MemoryBound: 0
; FloatMode: 240
; IeeeMode: 1
; LDSByteSize: 1024 bytes/workgroup (compile time only)
; SGPRBlocks: 1
; VGPRBlocks: 0
; NumSGPRsForWavesPerEU: 14
; NumVGPRsForWavesPerEU: 5
; AccumOffset: 8
; Occupancy: 8
; WaveLimiterHint : 0
; COMPUTE_PGM_RSRC2:SCRATCH_EN: 0
; COMPUTE_PGM_RSRC2:USER_SGPR: 6
; COMPUTE_PGM_RSRC2:TRAP_HANDLER: 0
; COMPUTE_PGM_RSRC2:TGID_X_EN: 1
; COMPUTE_PGM_RSRC2:TGID_Y_EN: 0
; COMPUTE_PGM_RSRC2:TGID_Z_EN: 0
; COMPUTE_PGM_RSRC2:TIDIG_COMP_CNT: 0
; COMPUTE_PGM_RSRC3_GFX90A:ACCUM_OFFSET: 1
; COMPUTE_PGM_RSRC3_GFX90A:TG_SPLIT: 0
	.section	.text._Z25scatter_to_blocked_kernelIixLj64ELj1EEvPT_PT0_Pj,"axG",@progbits,_Z25scatter_to_blocked_kernelIixLj64ELj1EEvPT_PT0_Pj,comdat
	.protected	_Z25scatter_to_blocked_kernelIixLj64ELj1EEvPT_PT0_Pj ; -- Begin function _Z25scatter_to_blocked_kernelIixLj64ELj1EEvPT_PT0_Pj
	.globl	_Z25scatter_to_blocked_kernelIixLj64ELj1EEvPT_PT0_Pj
	.p2align	8
	.type	_Z25scatter_to_blocked_kernelIixLj64ELj1EEvPT_PT0_Pj,@function
_Z25scatter_to_blocked_kernelIixLj64ELj1EEvPT_PT0_Pj: ; @_Z25scatter_to_blocked_kernelIixLj64ELj1EEvPT_PT0_Pj
; %bb.0:
	s_load_dwordx4 s[0:3], s[4:5], 0x0
	s_load_dwordx2 s[8:9], s[4:5], 0x10
	s_lshl_b32 s4, s6, 6
	s_mov_b32 s5, 0
	s_lshl_b64 s[6:7], s[4:5], 2
	s_waitcnt lgkmcnt(0)
	s_add_u32 s0, s0, s6
	s_addc_u32 s1, s1, s7
	s_add_u32 s6, s8, s6
	v_lshlrev_b32_e32 v1, 2, v0
	s_addc_u32 s7, s9, s7
	global_load_dword v2, v1, s[6:7]
	global_load_dword v3, v1, s[0:1]
	s_lshl_b64 s[0:1], s[4:5], 3
	s_add_u32 s0, s2, s0
	s_addc_u32 s1, s3, s1
	v_lshlrev_b32_e32 v0, 3, v0
	s_waitcnt vmcnt(1)
	v_lshlrev_b32_e32 v2, 2, v2
	s_waitcnt vmcnt(0)
	ds_write_b32 v2, v3
	s_waitcnt lgkmcnt(0)
	s_barrier
	ds_read_b32 v2, v1
	s_waitcnt lgkmcnt(0)
	v_ashrrev_i32_e32 v3, 31, v2
	global_store_dwordx2 v0, v[2:3], s[0:1]
	s_endpgm
	.section	.rodata,"a",@progbits
	.p2align	6, 0x0
	.amdhsa_kernel _Z25scatter_to_blocked_kernelIixLj64ELj1EEvPT_PT0_Pj
		.amdhsa_group_segment_fixed_size 256
		.amdhsa_private_segment_fixed_size 0
		.amdhsa_kernarg_size 24
		.amdhsa_user_sgpr_count 6
		.amdhsa_user_sgpr_private_segment_buffer 1
		.amdhsa_user_sgpr_dispatch_ptr 0
		.amdhsa_user_sgpr_queue_ptr 0
		.amdhsa_user_sgpr_kernarg_segment_ptr 1
		.amdhsa_user_sgpr_dispatch_id 0
		.amdhsa_user_sgpr_flat_scratch_init 0
		.amdhsa_user_sgpr_kernarg_preload_length 0
		.amdhsa_user_sgpr_kernarg_preload_offset 0
		.amdhsa_user_sgpr_private_segment_size 0
		.amdhsa_uses_dynamic_stack 0
		.amdhsa_system_sgpr_private_segment_wavefront_offset 0
		.amdhsa_system_sgpr_workgroup_id_x 1
		.amdhsa_system_sgpr_workgroup_id_y 0
		.amdhsa_system_sgpr_workgroup_id_z 0
		.amdhsa_system_sgpr_workgroup_info 0
		.amdhsa_system_vgpr_workitem_id 0
		.amdhsa_next_free_vgpr 4
		.amdhsa_next_free_sgpr 10
		.amdhsa_accum_offset 4
		.amdhsa_reserve_vcc 0
		.amdhsa_reserve_flat_scratch 0
		.amdhsa_float_round_mode_32 0
		.amdhsa_float_round_mode_16_64 0
		.amdhsa_float_denorm_mode_32 3
		.amdhsa_float_denorm_mode_16_64 3
		.amdhsa_dx10_clamp 1
		.amdhsa_ieee_mode 1
		.amdhsa_fp16_overflow 0
		.amdhsa_tg_split 0
		.amdhsa_exception_fp_ieee_invalid_op 0
		.amdhsa_exception_fp_denorm_src 0
		.amdhsa_exception_fp_ieee_div_zero 0
		.amdhsa_exception_fp_ieee_overflow 0
		.amdhsa_exception_fp_ieee_underflow 0
		.amdhsa_exception_fp_ieee_inexact 0
		.amdhsa_exception_int_div_zero 0
	.end_amdhsa_kernel
	.section	.text._Z25scatter_to_blocked_kernelIixLj64ELj1EEvPT_PT0_Pj,"axG",@progbits,_Z25scatter_to_blocked_kernelIixLj64ELj1EEvPT_PT0_Pj,comdat
.Lfunc_end90:
	.size	_Z25scatter_to_blocked_kernelIixLj64ELj1EEvPT_PT0_Pj, .Lfunc_end90-_Z25scatter_to_blocked_kernelIixLj64ELj1EEvPT_PT0_Pj
                                        ; -- End function
	.section	.AMDGPU.csdata,"",@progbits
; Kernel info:
; codeLenInByte = 140
; NumSgprs: 14
; NumVgprs: 4
; NumAgprs: 0
; TotalNumVgprs: 4
; ScratchSize: 0
; MemoryBound: 0
; FloatMode: 240
; IeeeMode: 1
; LDSByteSize: 256 bytes/workgroup (compile time only)
; SGPRBlocks: 1
; VGPRBlocks: 0
; NumSGPRsForWavesPerEU: 14
; NumVGPRsForWavesPerEU: 4
; AccumOffset: 4
; Occupancy: 8
; WaveLimiterHint : 0
; COMPUTE_PGM_RSRC2:SCRATCH_EN: 0
; COMPUTE_PGM_RSRC2:USER_SGPR: 6
; COMPUTE_PGM_RSRC2:TRAP_HANDLER: 0
; COMPUTE_PGM_RSRC2:TGID_X_EN: 1
; COMPUTE_PGM_RSRC2:TGID_Y_EN: 0
; COMPUTE_PGM_RSRC2:TGID_Z_EN: 0
; COMPUTE_PGM_RSRC2:TIDIG_COMP_CNT: 0
; COMPUTE_PGM_RSRC3_GFX90A:ACCUM_OFFSET: 0
; COMPUTE_PGM_RSRC3_GFX90A:TG_SPLIT: 0
	.section	.text._Z25scatter_to_blocked_kernelI6__halfS0_Lj512ELj4EEvPT_PT0_Pj,"axG",@progbits,_Z25scatter_to_blocked_kernelI6__halfS0_Lj512ELj4EEvPT_PT0_Pj,comdat
	.protected	_Z25scatter_to_blocked_kernelI6__halfS0_Lj512ELj4EEvPT_PT0_Pj ; -- Begin function _Z25scatter_to_blocked_kernelI6__halfS0_Lj512ELj4EEvPT_PT0_Pj
	.globl	_Z25scatter_to_blocked_kernelI6__halfS0_Lj512ELj4EEvPT_PT0_Pj
	.p2align	8
	.type	_Z25scatter_to_blocked_kernelI6__halfS0_Lj512ELj4EEvPT_PT0_Pj,@function
_Z25scatter_to_blocked_kernelI6__halfS0_Lj512ELj4EEvPT_PT0_Pj: ; @_Z25scatter_to_blocked_kernelI6__halfS0_Lj512ELj4EEvPT_PT0_Pj
; %bb.0:
	s_load_dwordx4 s[0:3], s[4:5], 0x0
	s_load_dwordx2 s[8:9], s[4:5], 0x10
	s_lshl_b32 s4, s6, 9
	s_mov_b32 s5, 0
	s_lshl_b64 s[6:7], s[4:5], 1
	s_waitcnt lgkmcnt(0)
	s_add_u32 s0, s0, s6
	s_addc_u32 s1, s1, s7
	s_lshl_b64 s[4:5], s[4:5], 2
	s_add_u32 s4, s8, s4
	s_addc_u32 s5, s9, s5
	v_lshlrev_b32_e32 v1, 4, v0
	global_load_dwordx4 v[2:5], v1, s[4:5]
	v_lshlrev_b32_e32 v8, 3, v0
	global_load_dwordx2 v[6:7], v8, s[0:1]
	v_lshlrev_b32_e32 v1, 2, v0
	v_lshrrev_b32_e32 v0, 3, v0
	v_and_b32_e32 v0, 62, v0
	v_add_lshl_u32 v0, v0, v1, 1
	s_add_u32 s0, s2, s6
	s_addc_u32 s1, s3, s7
	s_waitcnt vmcnt(1)
	v_lshrrev_b32_e32 v1, 5, v2
	v_lshrrev_b32_e32 v9, 5, v3
	;; [unrolled: 1-line block ×4, first 2 shown]
	v_and_b32_e32 v1, 0x7fffffe, v1
	v_and_b32_e32 v9, 0x7fffffe, v9
	;; [unrolled: 1-line block ×4, first 2 shown]
	v_add_lshl_u32 v1, v1, v2, 1
	v_add_lshl_u32 v2, v9, v3, 1
	v_add_lshl_u32 v3, v10, v4, 1
	v_add_lshl_u32 v4, v11, v5, 1
	s_waitcnt vmcnt(0)
	ds_write_b16 v1, v6
	ds_write_b16_d16_hi v2, v6
	ds_write_b16 v3, v7
	ds_write_b16_d16_hi v4, v7
	s_waitcnt lgkmcnt(0)
	s_barrier
	ds_read_b64 v[0:1], v0
	s_waitcnt lgkmcnt(0)
	global_store_dwordx2 v8, v[0:1], s[0:1]
	s_endpgm
	.section	.rodata,"a",@progbits
	.p2align	6, 0x0
	.amdhsa_kernel _Z25scatter_to_blocked_kernelI6__halfS0_Lj512ELj4EEvPT_PT0_Pj
		.amdhsa_group_segment_fixed_size 1056
		.amdhsa_private_segment_fixed_size 0
		.amdhsa_kernarg_size 24
		.amdhsa_user_sgpr_count 6
		.amdhsa_user_sgpr_private_segment_buffer 1
		.amdhsa_user_sgpr_dispatch_ptr 0
		.amdhsa_user_sgpr_queue_ptr 0
		.amdhsa_user_sgpr_kernarg_segment_ptr 1
		.amdhsa_user_sgpr_dispatch_id 0
		.amdhsa_user_sgpr_flat_scratch_init 0
		.amdhsa_user_sgpr_kernarg_preload_length 0
		.amdhsa_user_sgpr_kernarg_preload_offset 0
		.amdhsa_user_sgpr_private_segment_size 0
		.amdhsa_uses_dynamic_stack 0
		.amdhsa_system_sgpr_private_segment_wavefront_offset 0
		.amdhsa_system_sgpr_workgroup_id_x 1
		.amdhsa_system_sgpr_workgroup_id_y 0
		.amdhsa_system_sgpr_workgroup_id_z 0
		.amdhsa_system_sgpr_workgroup_info 0
		.amdhsa_system_vgpr_workitem_id 0
		.amdhsa_next_free_vgpr 12
		.amdhsa_next_free_sgpr 10
		.amdhsa_accum_offset 12
		.amdhsa_reserve_vcc 0
		.amdhsa_reserve_flat_scratch 0
		.amdhsa_float_round_mode_32 0
		.amdhsa_float_round_mode_16_64 0
		.amdhsa_float_denorm_mode_32 3
		.amdhsa_float_denorm_mode_16_64 3
		.amdhsa_dx10_clamp 1
		.amdhsa_ieee_mode 1
		.amdhsa_fp16_overflow 0
		.amdhsa_tg_split 0
		.amdhsa_exception_fp_ieee_invalid_op 0
		.amdhsa_exception_fp_denorm_src 0
		.amdhsa_exception_fp_ieee_div_zero 0
		.amdhsa_exception_fp_ieee_overflow 0
		.amdhsa_exception_fp_ieee_underflow 0
		.amdhsa_exception_fp_ieee_inexact 0
		.amdhsa_exception_int_div_zero 0
	.end_amdhsa_kernel
	.section	.text._Z25scatter_to_blocked_kernelI6__halfS0_Lj512ELj4EEvPT_PT0_Pj,"axG",@progbits,_Z25scatter_to_blocked_kernelI6__halfS0_Lj512ELj4EEvPT_PT0_Pj,comdat
.Lfunc_end91:
	.size	_Z25scatter_to_blocked_kernelI6__halfS0_Lj512ELj4EEvPT_PT0_Pj, .Lfunc_end91-_Z25scatter_to_blocked_kernelI6__halfS0_Lj512ELj4EEvPT_PT0_Pj
                                        ; -- End function
	.section	.AMDGPU.csdata,"",@progbits
; Kernel info:
; codeLenInByte = 256
; NumSgprs: 14
; NumVgprs: 12
; NumAgprs: 0
; TotalNumVgprs: 12
; ScratchSize: 0
; MemoryBound: 0
; FloatMode: 240
; IeeeMode: 1
; LDSByteSize: 1056 bytes/workgroup (compile time only)
; SGPRBlocks: 1
; VGPRBlocks: 1
; NumSGPRsForWavesPerEU: 14
; NumVGPRsForWavesPerEU: 12
; AccumOffset: 12
; Occupancy: 8
; WaveLimiterHint : 0
; COMPUTE_PGM_RSRC2:SCRATCH_EN: 0
; COMPUTE_PGM_RSRC2:USER_SGPR: 6
; COMPUTE_PGM_RSRC2:TRAP_HANDLER: 0
; COMPUTE_PGM_RSRC2:TGID_X_EN: 1
; COMPUTE_PGM_RSRC2:TGID_Y_EN: 0
; COMPUTE_PGM_RSRC2:TGID_Z_EN: 0
; COMPUTE_PGM_RSRC2:TIDIG_COMP_CNT: 0
; COMPUTE_PGM_RSRC3_GFX90A:ACCUM_OFFSET: 2
; COMPUTE_PGM_RSRC3_GFX90A:TG_SPLIT: 0
	.section	.text._Z25scatter_to_blocked_kernelI12hip_bfloat16S0_Lj512ELj4EEvPT_PT0_Pj,"axG",@progbits,_Z25scatter_to_blocked_kernelI12hip_bfloat16S0_Lj512ELj4EEvPT_PT0_Pj,comdat
	.protected	_Z25scatter_to_blocked_kernelI12hip_bfloat16S0_Lj512ELj4EEvPT_PT0_Pj ; -- Begin function _Z25scatter_to_blocked_kernelI12hip_bfloat16S0_Lj512ELj4EEvPT_PT0_Pj
	.globl	_Z25scatter_to_blocked_kernelI12hip_bfloat16S0_Lj512ELj4EEvPT_PT0_Pj
	.p2align	8
	.type	_Z25scatter_to_blocked_kernelI12hip_bfloat16S0_Lj512ELj4EEvPT_PT0_Pj,@function
_Z25scatter_to_blocked_kernelI12hip_bfloat16S0_Lj512ELj4EEvPT_PT0_Pj: ; @_Z25scatter_to_blocked_kernelI12hip_bfloat16S0_Lj512ELj4EEvPT_PT0_Pj
; %bb.0:
	s_load_dwordx4 s[0:3], s[4:5], 0x0
	s_load_dwordx2 s[8:9], s[4:5], 0x10
	s_lshl_b32 s4, s6, 9
	s_mov_b32 s5, 0
	s_lshl_b64 s[6:7], s[4:5], 1
	s_waitcnt lgkmcnt(0)
	s_add_u32 s0, s0, s6
	s_addc_u32 s1, s1, s7
	s_lshl_b64 s[4:5], s[4:5], 2
	s_add_u32 s4, s8, s4
	s_addc_u32 s5, s9, s5
	v_lshlrev_b32_e32 v1, 4, v0
	global_load_dwordx4 v[2:5], v1, s[4:5]
	v_lshlrev_b32_e32 v8, 3, v0
	global_load_dwordx2 v[6:7], v8, s[0:1]
	v_lshlrev_b32_e32 v1, 2, v0
	v_lshrrev_b32_e32 v0, 3, v0
	v_and_b32_e32 v0, 62, v0
	v_add_lshl_u32 v0, v0, v1, 1
	s_add_u32 s0, s2, s6
	s_addc_u32 s1, s3, s7
	s_waitcnt vmcnt(1)
	v_lshrrev_b32_e32 v1, 5, v2
	v_lshrrev_b32_e32 v9, 5, v3
	;; [unrolled: 1-line block ×4, first 2 shown]
	v_and_b32_e32 v1, 0x7fffffe, v1
	v_and_b32_e32 v9, 0x7fffffe, v9
	;; [unrolled: 1-line block ×4, first 2 shown]
	v_add_lshl_u32 v1, v1, v2, 1
	v_add_lshl_u32 v2, v9, v3, 1
	;; [unrolled: 1-line block ×4, first 2 shown]
	s_waitcnt vmcnt(0)
	ds_write_b16 v1, v6
	ds_write_b16_d16_hi v2, v6
	ds_write_b16 v3, v7
	ds_write_b16_d16_hi v4, v7
	s_waitcnt lgkmcnt(0)
	s_barrier
	ds_read_b64 v[0:1], v0
	s_waitcnt lgkmcnt(0)
	global_store_dwordx2 v8, v[0:1], s[0:1]
	s_endpgm
	.section	.rodata,"a",@progbits
	.p2align	6, 0x0
	.amdhsa_kernel _Z25scatter_to_blocked_kernelI12hip_bfloat16S0_Lj512ELj4EEvPT_PT0_Pj
		.amdhsa_group_segment_fixed_size 1056
		.amdhsa_private_segment_fixed_size 0
		.amdhsa_kernarg_size 24
		.amdhsa_user_sgpr_count 6
		.amdhsa_user_sgpr_private_segment_buffer 1
		.amdhsa_user_sgpr_dispatch_ptr 0
		.amdhsa_user_sgpr_queue_ptr 0
		.amdhsa_user_sgpr_kernarg_segment_ptr 1
		.amdhsa_user_sgpr_dispatch_id 0
		.amdhsa_user_sgpr_flat_scratch_init 0
		.amdhsa_user_sgpr_kernarg_preload_length 0
		.amdhsa_user_sgpr_kernarg_preload_offset 0
		.amdhsa_user_sgpr_private_segment_size 0
		.amdhsa_uses_dynamic_stack 0
		.amdhsa_system_sgpr_private_segment_wavefront_offset 0
		.amdhsa_system_sgpr_workgroup_id_x 1
		.amdhsa_system_sgpr_workgroup_id_y 0
		.amdhsa_system_sgpr_workgroup_id_z 0
		.amdhsa_system_sgpr_workgroup_info 0
		.amdhsa_system_vgpr_workitem_id 0
		.amdhsa_next_free_vgpr 12
		.amdhsa_next_free_sgpr 10
		.amdhsa_accum_offset 12
		.amdhsa_reserve_vcc 0
		.amdhsa_reserve_flat_scratch 0
		.amdhsa_float_round_mode_32 0
		.amdhsa_float_round_mode_16_64 0
		.amdhsa_float_denorm_mode_32 3
		.amdhsa_float_denorm_mode_16_64 3
		.amdhsa_dx10_clamp 1
		.amdhsa_ieee_mode 1
		.amdhsa_fp16_overflow 0
		.amdhsa_tg_split 0
		.amdhsa_exception_fp_ieee_invalid_op 0
		.amdhsa_exception_fp_denorm_src 0
		.amdhsa_exception_fp_ieee_div_zero 0
		.amdhsa_exception_fp_ieee_overflow 0
		.amdhsa_exception_fp_ieee_underflow 0
		.amdhsa_exception_fp_ieee_inexact 0
		.amdhsa_exception_int_div_zero 0
	.end_amdhsa_kernel
	.section	.text._Z25scatter_to_blocked_kernelI12hip_bfloat16S0_Lj512ELj4EEvPT_PT0_Pj,"axG",@progbits,_Z25scatter_to_blocked_kernelI12hip_bfloat16S0_Lj512ELj4EEvPT_PT0_Pj,comdat
.Lfunc_end92:
	.size	_Z25scatter_to_blocked_kernelI12hip_bfloat16S0_Lj512ELj4EEvPT_PT0_Pj, .Lfunc_end92-_Z25scatter_to_blocked_kernelI12hip_bfloat16S0_Lj512ELj4EEvPT_PT0_Pj
                                        ; -- End function
	.section	.AMDGPU.csdata,"",@progbits
; Kernel info:
; codeLenInByte = 256
; NumSgprs: 14
; NumVgprs: 12
; NumAgprs: 0
; TotalNumVgprs: 12
; ScratchSize: 0
; MemoryBound: 0
; FloatMode: 240
; IeeeMode: 1
; LDSByteSize: 1056 bytes/workgroup (compile time only)
; SGPRBlocks: 1
; VGPRBlocks: 1
; NumSGPRsForWavesPerEU: 14
; NumVGPRsForWavesPerEU: 12
; AccumOffset: 12
; Occupancy: 8
; WaveLimiterHint : 0
; COMPUTE_PGM_RSRC2:SCRATCH_EN: 0
; COMPUTE_PGM_RSRC2:USER_SGPR: 6
; COMPUTE_PGM_RSRC2:TRAP_HANDLER: 0
; COMPUTE_PGM_RSRC2:TGID_X_EN: 1
; COMPUTE_PGM_RSRC2:TGID_Y_EN: 0
; COMPUTE_PGM_RSRC2:TGID_Z_EN: 0
; COMPUTE_PGM_RSRC2:TIDIG_COMP_CNT: 0
; COMPUTE_PGM_RSRC3_GFX90A:ACCUM_OFFSET: 2
; COMPUTE_PGM_RSRC3_GFX90A:TG_SPLIT: 0
	.section	.text._Z25scatter_to_blocked_kernelIfdLj512ELj4EEvPT_PT0_Pj,"axG",@progbits,_Z25scatter_to_blocked_kernelIfdLj512ELj4EEvPT_PT0_Pj,comdat
	.protected	_Z25scatter_to_blocked_kernelIfdLj512ELj4EEvPT_PT0_Pj ; -- Begin function _Z25scatter_to_blocked_kernelIfdLj512ELj4EEvPT_PT0_Pj
	.globl	_Z25scatter_to_blocked_kernelIfdLj512ELj4EEvPT_PT0_Pj
	.p2align	8
	.type	_Z25scatter_to_blocked_kernelIfdLj512ELj4EEvPT_PT0_Pj,@function
_Z25scatter_to_blocked_kernelIfdLj512ELj4EEvPT_PT0_Pj: ; @_Z25scatter_to_blocked_kernelIfdLj512ELj4EEvPT_PT0_Pj
; %bb.0:
	s_load_dwordx4 s[0:3], s[4:5], 0x0
	s_load_dwordx2 s[8:9], s[4:5], 0x10
	s_lshl_b32 s4, s6, 9
	s_mov_b32 s5, 0
	s_lshl_b64 s[6:7], s[4:5], 2
	s_waitcnt lgkmcnt(0)
	s_add_u32 s0, s0, s6
	s_addc_u32 s1, s1, s7
	s_add_u32 s6, s8, s6
	v_lshlrev_b32_e32 v1, 4, v0
	s_addc_u32 s7, s9, s7
	global_load_dwordx4 v[2:5], v1, s[6:7]
	global_load_dwordx4 v[6:9], v1, s[0:1]
	v_lshlrev_b32_e32 v1, 2, v0
	v_lshrrev_b32_e32 v10, 3, v0
	v_lshlrev_b32_e32 v11, 5, v0
	v_add_lshl_u32 v0, v10, v1, 2
	s_lshl_b64 s[0:1], s[4:5], 3
	s_add_u32 s0, s2, s0
	s_addc_u32 s1, s3, s1
	s_waitcnt vmcnt(1)
	v_lshrrev_b32_e32 v1, 5, v3
	v_lshrrev_b32_e32 v10, 5, v2
	;; [unrolled: 1-line block ×4, first 2 shown]
	v_add_lshl_u32 v2, v10, v2, 2
	v_add_lshl_u32 v1, v1, v3, 2
	;; [unrolled: 1-line block ×4, first 2 shown]
	s_waitcnt vmcnt(0)
	ds_write_b32 v2, v6
	ds_write_b32 v1, v7
	;; [unrolled: 1-line block ×4, first 2 shown]
	s_waitcnt lgkmcnt(0)
	s_barrier
	ds_read2_b32 v[2:3], v0 offset1:1
	ds_read2_b32 v[6:7], v0 offset0:2 offset1:3
	s_waitcnt lgkmcnt(1)
	v_cvt_f64_f32_e32 v[0:1], v2
	v_cvt_f64_f32_e32 v[2:3], v3
	s_waitcnt lgkmcnt(0)
	v_cvt_f64_f32_e32 v[4:5], v6
	v_cvt_f64_f32_e32 v[6:7], v7
	global_store_dwordx4 v11, v[0:3], s[0:1]
	global_store_dwordx4 v11, v[4:7], s[0:1] offset:16
	s_endpgm
	.section	.rodata,"a",@progbits
	.p2align	6, 0x0
	.amdhsa_kernel _Z25scatter_to_blocked_kernelIfdLj512ELj4EEvPT_PT0_Pj
		.amdhsa_group_segment_fixed_size 2112
		.amdhsa_private_segment_fixed_size 0
		.amdhsa_kernarg_size 24
		.amdhsa_user_sgpr_count 6
		.amdhsa_user_sgpr_private_segment_buffer 1
		.amdhsa_user_sgpr_dispatch_ptr 0
		.amdhsa_user_sgpr_queue_ptr 0
		.amdhsa_user_sgpr_kernarg_segment_ptr 1
		.amdhsa_user_sgpr_dispatch_id 0
		.amdhsa_user_sgpr_flat_scratch_init 0
		.amdhsa_user_sgpr_kernarg_preload_length 0
		.amdhsa_user_sgpr_kernarg_preload_offset 0
		.amdhsa_user_sgpr_private_segment_size 0
		.amdhsa_uses_dynamic_stack 0
		.amdhsa_system_sgpr_private_segment_wavefront_offset 0
		.amdhsa_system_sgpr_workgroup_id_x 1
		.amdhsa_system_sgpr_workgroup_id_y 0
		.amdhsa_system_sgpr_workgroup_id_z 0
		.amdhsa_system_sgpr_workgroup_info 0
		.amdhsa_system_vgpr_workitem_id 0
		.amdhsa_next_free_vgpr 14
		.amdhsa_next_free_sgpr 10
		.amdhsa_accum_offset 16
		.amdhsa_reserve_vcc 0
		.amdhsa_reserve_flat_scratch 0
		.amdhsa_float_round_mode_32 0
		.amdhsa_float_round_mode_16_64 0
		.amdhsa_float_denorm_mode_32 3
		.amdhsa_float_denorm_mode_16_64 3
		.amdhsa_dx10_clamp 1
		.amdhsa_ieee_mode 1
		.amdhsa_fp16_overflow 0
		.amdhsa_tg_split 0
		.amdhsa_exception_fp_ieee_invalid_op 0
		.amdhsa_exception_fp_denorm_src 0
		.amdhsa_exception_fp_ieee_div_zero 0
		.amdhsa_exception_fp_ieee_overflow 0
		.amdhsa_exception_fp_ieee_underflow 0
		.amdhsa_exception_fp_ieee_inexact 0
		.amdhsa_exception_int_div_zero 0
	.end_amdhsa_kernel
	.section	.text._Z25scatter_to_blocked_kernelIfdLj512ELj4EEvPT_PT0_Pj,"axG",@progbits,_Z25scatter_to_blocked_kernelIfdLj512ELj4EEvPT_PT0_Pj,comdat
.Lfunc_end93:
	.size	_Z25scatter_to_blocked_kernelIfdLj512ELj4EEvPT_PT0_Pj, .Lfunc_end93-_Z25scatter_to_blocked_kernelIfdLj512ELj4EEvPT_PT0_Pj
                                        ; -- End function
	.section	.AMDGPU.csdata,"",@progbits
; Kernel info:
; codeLenInByte = 256
; NumSgprs: 14
; NumVgprs: 14
; NumAgprs: 0
; TotalNumVgprs: 14
; ScratchSize: 0
; MemoryBound: 0
; FloatMode: 240
; IeeeMode: 1
; LDSByteSize: 2112 bytes/workgroup (compile time only)
; SGPRBlocks: 1
; VGPRBlocks: 1
; NumSGPRsForWavesPerEU: 14
; NumVGPRsForWavesPerEU: 14
; AccumOffset: 16
; Occupancy: 8
; WaveLimiterHint : 0
; COMPUTE_PGM_RSRC2:SCRATCH_EN: 0
; COMPUTE_PGM_RSRC2:USER_SGPR: 6
; COMPUTE_PGM_RSRC2:TRAP_HANDLER: 0
; COMPUTE_PGM_RSRC2:TGID_X_EN: 1
; COMPUTE_PGM_RSRC2:TGID_Y_EN: 0
; COMPUTE_PGM_RSRC2:TGID_Z_EN: 0
; COMPUTE_PGM_RSRC2:TIDIG_COMP_CNT: 0
; COMPUTE_PGM_RSRC3_GFX90A:ACCUM_OFFSET: 3
; COMPUTE_PGM_RSRC3_GFX90A:TG_SPLIT: 0
	.section	.text._Z25scatter_to_blocked_kernelIiiLj512ELj4EEvPT_PT0_Pj,"axG",@progbits,_Z25scatter_to_blocked_kernelIiiLj512ELj4EEvPT_PT0_Pj,comdat
	.protected	_Z25scatter_to_blocked_kernelIiiLj512ELj4EEvPT_PT0_Pj ; -- Begin function _Z25scatter_to_blocked_kernelIiiLj512ELj4EEvPT_PT0_Pj
	.globl	_Z25scatter_to_blocked_kernelIiiLj512ELj4EEvPT_PT0_Pj
	.p2align	8
	.type	_Z25scatter_to_blocked_kernelIiiLj512ELj4EEvPT_PT0_Pj,@function
_Z25scatter_to_blocked_kernelIiiLj512ELj4EEvPT_PT0_Pj: ; @_Z25scatter_to_blocked_kernelIiiLj512ELj4EEvPT_PT0_Pj
; %bb.0:
	s_load_dwordx4 s[0:3], s[4:5], 0x0
	s_load_dwordx2 s[8:9], s[4:5], 0x10
	s_lshl_b32 s4, s6, 9
	s_mov_b32 s5, 0
	s_lshl_b64 s[4:5], s[4:5], 2
	s_waitcnt lgkmcnt(0)
	s_add_u32 s0, s0, s4
	s_addc_u32 s1, s1, s5
	s_add_u32 s6, s8, s4
	v_lshlrev_b32_e32 v10, 4, v0
	s_addc_u32 s7, s9, s5
	global_load_dwordx4 v[2:5], v10, s[6:7]
	global_load_dwordx4 v[6:9], v10, s[0:1]
	v_lshlrev_b32_e32 v1, 2, v0
	v_lshrrev_b32_e32 v0, 3, v0
	v_add_lshl_u32 v11, v0, v1, 2
	s_add_u32 s0, s2, s4
	s_addc_u32 s1, s3, s5
	s_waitcnt vmcnt(1)
	v_lshrrev_b32_e32 v0, 5, v3
	v_lshrrev_b32_e32 v1, 5, v2
	;; [unrolled: 1-line block ×4, first 2 shown]
	v_add_lshl_u32 v1, v1, v2, 2
	v_add_lshl_u32 v0, v0, v3, 2
	;; [unrolled: 1-line block ×4, first 2 shown]
	s_waitcnt vmcnt(0)
	ds_write_b32 v1, v6
	ds_write_b32 v0, v7
	;; [unrolled: 1-line block ×4, first 2 shown]
	s_waitcnt lgkmcnt(0)
	s_barrier
	ds_read2_b32 v[0:1], v11 offset1:1
	ds_read2_b32 v[2:3], v11 offset0:2 offset1:3
	s_waitcnt lgkmcnt(0)
	global_store_dwordx4 v10, v[0:3], s[0:1]
	s_endpgm
	.section	.rodata,"a",@progbits
	.p2align	6, 0x0
	.amdhsa_kernel _Z25scatter_to_blocked_kernelIiiLj512ELj4EEvPT_PT0_Pj
		.amdhsa_group_segment_fixed_size 2112
		.amdhsa_private_segment_fixed_size 0
		.amdhsa_kernarg_size 24
		.amdhsa_user_sgpr_count 6
		.amdhsa_user_sgpr_private_segment_buffer 1
		.amdhsa_user_sgpr_dispatch_ptr 0
		.amdhsa_user_sgpr_queue_ptr 0
		.amdhsa_user_sgpr_kernarg_segment_ptr 1
		.amdhsa_user_sgpr_dispatch_id 0
		.amdhsa_user_sgpr_flat_scratch_init 0
		.amdhsa_user_sgpr_kernarg_preload_length 0
		.amdhsa_user_sgpr_kernarg_preload_offset 0
		.amdhsa_user_sgpr_private_segment_size 0
		.amdhsa_uses_dynamic_stack 0
		.amdhsa_system_sgpr_private_segment_wavefront_offset 0
		.amdhsa_system_sgpr_workgroup_id_x 1
		.amdhsa_system_sgpr_workgroup_id_y 0
		.amdhsa_system_sgpr_workgroup_id_z 0
		.amdhsa_system_sgpr_workgroup_info 0
		.amdhsa_system_vgpr_workitem_id 0
		.amdhsa_next_free_vgpr 14
		.amdhsa_next_free_sgpr 10
		.amdhsa_accum_offset 16
		.amdhsa_reserve_vcc 0
		.amdhsa_reserve_flat_scratch 0
		.amdhsa_float_round_mode_32 0
		.amdhsa_float_round_mode_16_64 0
		.amdhsa_float_denorm_mode_32 3
		.amdhsa_float_denorm_mode_16_64 3
		.amdhsa_dx10_clamp 1
		.amdhsa_ieee_mode 1
		.amdhsa_fp16_overflow 0
		.amdhsa_tg_split 0
		.amdhsa_exception_fp_ieee_invalid_op 0
		.amdhsa_exception_fp_denorm_src 0
		.amdhsa_exception_fp_ieee_div_zero 0
		.amdhsa_exception_fp_ieee_overflow 0
		.amdhsa_exception_fp_ieee_underflow 0
		.amdhsa_exception_fp_ieee_inexact 0
		.amdhsa_exception_int_div_zero 0
	.end_amdhsa_kernel
	.section	.text._Z25scatter_to_blocked_kernelIiiLj512ELj4EEvPT_PT0_Pj,"axG",@progbits,_Z25scatter_to_blocked_kernelIiiLj512ELj4EEvPT_PT0_Pj,comdat
.Lfunc_end94:
	.size	_Z25scatter_to_blocked_kernelIiiLj512ELj4EEvPT_PT0_Pj, .Lfunc_end94-_Z25scatter_to_blocked_kernelIiiLj512ELj4EEvPT_PT0_Pj
                                        ; -- End function
	.section	.AMDGPU.csdata,"",@progbits
; Kernel info:
; codeLenInByte = 220
; NumSgprs: 14
; NumVgprs: 14
; NumAgprs: 0
; TotalNumVgprs: 14
; ScratchSize: 0
; MemoryBound: 0
; FloatMode: 240
; IeeeMode: 1
; LDSByteSize: 2112 bytes/workgroup (compile time only)
; SGPRBlocks: 1
; VGPRBlocks: 1
; NumSGPRsForWavesPerEU: 14
; NumVGPRsForWavesPerEU: 14
; AccumOffset: 16
; Occupancy: 8
; WaveLimiterHint : 0
; COMPUTE_PGM_RSRC2:SCRATCH_EN: 0
; COMPUTE_PGM_RSRC2:USER_SGPR: 6
; COMPUTE_PGM_RSRC2:TRAP_HANDLER: 0
; COMPUTE_PGM_RSRC2:TGID_X_EN: 1
; COMPUTE_PGM_RSRC2:TGID_Y_EN: 0
; COMPUTE_PGM_RSRC2:TGID_Z_EN: 0
; COMPUTE_PGM_RSRC2:TIDIG_COMP_CNT: 0
; COMPUTE_PGM_RSRC3_GFX90A:ACCUM_OFFSET: 3
; COMPUTE_PGM_RSRC3_GFX90A:TG_SPLIT: 0
	.section	.text._Z25scatter_to_striped_kernelIsiLj2106ELj9EEvPT_PT0_Pj,"axG",@progbits,_Z25scatter_to_striped_kernelIsiLj2106ELj9EEvPT_PT0_Pj,comdat
	.protected	_Z25scatter_to_striped_kernelIsiLj2106ELj9EEvPT_PT0_Pj ; -- Begin function _Z25scatter_to_striped_kernelIsiLj2106ELj9EEvPT_PT0_Pj
	.globl	_Z25scatter_to_striped_kernelIsiLj2106ELj9EEvPT_PT0_Pj
	.p2align	8
	.type	_Z25scatter_to_striped_kernelIsiLj2106ELj9EEvPT_PT0_Pj,@function
_Z25scatter_to_striped_kernelIsiLj2106ELj9EEvPT_PT0_Pj: ; @_Z25scatter_to_striped_kernelIsiLj2106ELj9EEvPT_PT0_Pj
; %bb.0:
	s_load_dwordx4 s[0:3], s[4:5], 0x0
	s_load_dwordx2 s[8:9], s[4:5], 0x10
	s_mul_i32 s4, s6, 0x83a
	s_mov_b32 s5, 0
	s_lshl_b64 s[6:7], s[4:5], 1
	s_waitcnt lgkmcnt(0)
	s_add_u32 s0, s0, s6
	s_addc_u32 s1, s1, s7
	s_lshl_b64 s[4:5], s[4:5], 2
	v_mul_u32_u24_e32 v1, 9, v0
	s_add_u32 s6, s8, s4
	s_addc_u32 s7, s9, s5
	v_lshlrev_b32_e32 v14, 2, v1
	global_load_dwordx4 v[2:5], v14, s[6:7]
	global_load_dwordx4 v[6:9], v14, s[6:7] offset:16
	v_lshlrev_b32_e32 v1, 1, v1
	global_load_dword v15, v14, s[6:7] offset:32
	global_load_dwordx4 v[10:13], v1, s[0:1]
	global_load_ushort v16, v1, s[0:1] offset:16
	v_lshlrev_b32_e32 v17, 1, v0
	s_add_u32 s0, s2, s4
	s_addc_u32 s1, s3, s5
	s_waitcnt vmcnt(4)
	v_lshlrev_b32_e32 v0, 1, v2
	v_lshlrev_b32_e32 v1, 1, v3
	;; [unrolled: 1-line block ×4, first 2 shown]
	s_waitcnt vmcnt(3)
	v_lshlrev_b32_e32 v4, 1, v6
	v_lshlrev_b32_e32 v5, 1, v7
	;; [unrolled: 1-line block ×4, first 2 shown]
	s_waitcnt vmcnt(2)
	v_lshlrev_b32_e32 v8, 1, v15
	s_waitcnt vmcnt(1)
	ds_write_b16 v0, v10
	ds_write_b16_d16_hi v1, v10
	ds_write_b16 v2, v11
	ds_write_b16_d16_hi v3, v11
	;; [unrolled: 2-line block ×4, first 2 shown]
	s_waitcnt vmcnt(0)
	ds_write_b16 v8, v16
	s_waitcnt lgkmcnt(0)
	s_barrier
	ds_read_i16 v0, v17
	ds_read_i16 v1, v17 offset:468
	ds_read_i16 v2, v17 offset:936
	ds_read_i16 v3, v17 offset:1404
	ds_read_i16 v4, v17 offset:1872
	ds_read_i16 v5, v17 offset:2340
	ds_read_i16 v6, v17 offset:2808
	ds_read_i16 v7, v17 offset:3276
	ds_read_i16 v8, v17 offset:3744
	s_waitcnt lgkmcnt(5)
	global_store_dwordx4 v14, v[0:3], s[0:1]
	s_waitcnt lgkmcnt(1)
	global_store_dwordx4 v14, v[4:7], s[0:1] offset:16
	s_waitcnt lgkmcnt(0)
	global_store_dword v14, v8, s[0:1] offset:32
	s_endpgm
	.section	.rodata,"a",@progbits
	.p2align	6, 0x0
	.amdhsa_kernel _Z25scatter_to_striped_kernelIsiLj2106ELj9EEvPT_PT0_Pj
		.amdhsa_group_segment_fixed_size 4224
		.amdhsa_private_segment_fixed_size 0
		.amdhsa_kernarg_size 24
		.amdhsa_user_sgpr_count 6
		.amdhsa_user_sgpr_private_segment_buffer 1
		.amdhsa_user_sgpr_dispatch_ptr 0
		.amdhsa_user_sgpr_queue_ptr 0
		.amdhsa_user_sgpr_kernarg_segment_ptr 1
		.amdhsa_user_sgpr_dispatch_id 0
		.amdhsa_user_sgpr_flat_scratch_init 0
		.amdhsa_user_sgpr_kernarg_preload_length 0
		.amdhsa_user_sgpr_kernarg_preload_offset 0
		.amdhsa_user_sgpr_private_segment_size 0
		.amdhsa_uses_dynamic_stack 0
		.amdhsa_system_sgpr_private_segment_wavefront_offset 0
		.amdhsa_system_sgpr_workgroup_id_x 1
		.amdhsa_system_sgpr_workgroup_id_y 0
		.amdhsa_system_sgpr_workgroup_id_z 0
		.amdhsa_system_sgpr_workgroup_info 0
		.amdhsa_system_vgpr_workitem_id 0
		.amdhsa_next_free_vgpr 18
		.amdhsa_next_free_sgpr 10
		.amdhsa_accum_offset 20
		.amdhsa_reserve_vcc 0
		.amdhsa_reserve_flat_scratch 0
		.amdhsa_float_round_mode_32 0
		.amdhsa_float_round_mode_16_64 0
		.amdhsa_float_denorm_mode_32 3
		.amdhsa_float_denorm_mode_16_64 3
		.amdhsa_dx10_clamp 1
		.amdhsa_ieee_mode 1
		.amdhsa_fp16_overflow 0
		.amdhsa_tg_split 0
		.amdhsa_exception_fp_ieee_invalid_op 0
		.amdhsa_exception_fp_denorm_src 0
		.amdhsa_exception_fp_ieee_div_zero 0
		.amdhsa_exception_fp_ieee_overflow 0
		.amdhsa_exception_fp_ieee_underflow 0
		.amdhsa_exception_fp_ieee_inexact 0
		.amdhsa_exception_int_div_zero 0
	.end_amdhsa_kernel
	.section	.text._Z25scatter_to_striped_kernelIsiLj2106ELj9EEvPT_PT0_Pj,"axG",@progbits,_Z25scatter_to_striped_kernelIsiLj2106ELj9EEvPT_PT0_Pj,comdat
.Lfunc_end95:
	.size	_Z25scatter_to_striped_kernelIsiLj2106ELj9EEvPT_PT0_Pj, .Lfunc_end95-_Z25scatter_to_striped_kernelIsiLj2106ELj9EEvPT_PT0_Pj
                                        ; -- End function
	.section	.AMDGPU.csdata,"",@progbits
; Kernel info:
; codeLenInByte = 368
; NumSgprs: 14
; NumVgprs: 18
; NumAgprs: 0
; TotalNumVgprs: 18
; ScratchSize: 0
; MemoryBound: 0
; FloatMode: 240
; IeeeMode: 1
; LDSByteSize: 4224 bytes/workgroup (compile time only)
; SGPRBlocks: 1
; VGPRBlocks: 2
; NumSGPRsForWavesPerEU: 14
; NumVGPRsForWavesPerEU: 18
; AccumOffset: 20
; Occupancy: 8
; WaveLimiterHint : 0
; COMPUTE_PGM_RSRC2:SCRATCH_EN: 0
; COMPUTE_PGM_RSRC2:USER_SGPR: 6
; COMPUTE_PGM_RSRC2:TRAP_HANDLER: 0
; COMPUTE_PGM_RSRC2:TGID_X_EN: 1
; COMPUTE_PGM_RSRC2:TGID_Y_EN: 0
; COMPUTE_PGM_RSRC2:TGID_Z_EN: 0
; COMPUTE_PGM_RSRC2:TIDIG_COMP_CNT: 0
; COMPUTE_PGM_RSRC3_GFX90A:ACCUM_OFFSET: 4
; COMPUTE_PGM_RSRC3_GFX90A:TG_SPLIT: 0
	.section	.text._Z25scatter_to_striped_kernelItjLj300ELj3EEvPT_PT0_Pj,"axG",@progbits,_Z25scatter_to_striped_kernelItjLj300ELj3EEvPT_PT0_Pj,comdat
	.protected	_Z25scatter_to_striped_kernelItjLj300ELj3EEvPT_PT0_Pj ; -- Begin function _Z25scatter_to_striped_kernelItjLj300ELj3EEvPT_PT0_Pj
	.globl	_Z25scatter_to_striped_kernelItjLj300ELj3EEvPT_PT0_Pj
	.p2align	8
	.type	_Z25scatter_to_striped_kernelItjLj300ELj3EEvPT_PT0_Pj,@function
_Z25scatter_to_striped_kernelItjLj300ELj3EEvPT_PT0_Pj: ; @_Z25scatter_to_striped_kernelItjLj300ELj3EEvPT_PT0_Pj
; %bb.0:
	s_load_dwordx4 s[0:3], s[4:5], 0x0
	s_load_dwordx2 s[8:9], s[4:5], 0x10
	s_mul_i32 s4, s6, 0x12c
	s_mov_b32 s5, 0
	s_lshl_b64 s[6:7], s[4:5], 1
	s_waitcnt lgkmcnt(0)
	s_add_u32 s0, s0, s6
	s_addc_u32 s1, s1, s7
	s_lshl_b64 s[4:5], s[4:5], 2
	v_mul_u32_u24_e32 v1, 3, v0
	s_add_u32 s6, s8, s4
	s_addc_u32 s7, s9, s5
	v_lshlrev_b32_e32 v5, 2, v1
	global_load_dwordx3 v[2:4], v5, s[6:7]
	v_lshlrev_b32_e32 v1, 1, v1
	global_load_dword v6, v1, s[0:1]
	global_load_ushort v7, v1, s[0:1] offset:4
	v_lshlrev_b32_e32 v8, 1, v0
	s_add_u32 s0, s2, s4
	s_addc_u32 s1, s3, s5
	s_waitcnt vmcnt(2)
	v_lshlrev_b32_e32 v0, 1, v2
	v_lshlrev_b32_e32 v1, 1, v3
	;; [unrolled: 1-line block ×3, first 2 shown]
	s_waitcnt vmcnt(1)
	ds_write_b16 v0, v6
	ds_write_b16_d16_hi v1, v6
	s_waitcnt vmcnt(0)
	ds_write_b16 v2, v7
	s_waitcnt lgkmcnt(0)
	s_barrier
	ds_read_u16 v0, v8
	ds_read_u16 v1, v8 offset:200
	ds_read_u16 v2, v8 offset:400
	s_waitcnt lgkmcnt(0)
	global_store_dwordx3 v5, v[0:2], s[0:1]
	s_endpgm
	.section	.rodata,"a",@progbits
	.p2align	6, 0x0
	.amdhsa_kernel _Z25scatter_to_striped_kernelItjLj300ELj3EEvPT_PT0_Pj
		.amdhsa_group_segment_fixed_size 608
		.amdhsa_private_segment_fixed_size 0
		.amdhsa_kernarg_size 24
		.amdhsa_user_sgpr_count 6
		.amdhsa_user_sgpr_private_segment_buffer 1
		.amdhsa_user_sgpr_dispatch_ptr 0
		.amdhsa_user_sgpr_queue_ptr 0
		.amdhsa_user_sgpr_kernarg_segment_ptr 1
		.amdhsa_user_sgpr_dispatch_id 0
		.amdhsa_user_sgpr_flat_scratch_init 0
		.amdhsa_user_sgpr_kernarg_preload_length 0
		.amdhsa_user_sgpr_kernarg_preload_offset 0
		.amdhsa_user_sgpr_private_segment_size 0
		.amdhsa_uses_dynamic_stack 0
		.amdhsa_system_sgpr_private_segment_wavefront_offset 0
		.amdhsa_system_sgpr_workgroup_id_x 1
		.amdhsa_system_sgpr_workgroup_id_y 0
		.amdhsa_system_sgpr_workgroup_id_z 0
		.amdhsa_system_sgpr_workgroup_info 0
		.amdhsa_system_vgpr_workitem_id 0
		.amdhsa_next_free_vgpr 9
		.amdhsa_next_free_sgpr 10
		.amdhsa_accum_offset 12
		.amdhsa_reserve_vcc 0
		.amdhsa_reserve_flat_scratch 0
		.amdhsa_float_round_mode_32 0
		.amdhsa_float_round_mode_16_64 0
		.amdhsa_float_denorm_mode_32 3
		.amdhsa_float_denorm_mode_16_64 3
		.amdhsa_dx10_clamp 1
		.amdhsa_ieee_mode 1
		.amdhsa_fp16_overflow 0
		.amdhsa_tg_split 0
		.amdhsa_exception_fp_ieee_invalid_op 0
		.amdhsa_exception_fp_denorm_src 0
		.amdhsa_exception_fp_ieee_div_zero 0
		.amdhsa_exception_fp_ieee_overflow 0
		.amdhsa_exception_fp_ieee_underflow 0
		.amdhsa_exception_fp_ieee_inexact 0
		.amdhsa_exception_int_div_zero 0
	.end_amdhsa_kernel
	.section	.text._Z25scatter_to_striped_kernelItjLj300ELj3EEvPT_PT0_Pj,"axG",@progbits,_Z25scatter_to_striped_kernelItjLj300ELj3EEvPT_PT0_Pj,comdat
.Lfunc_end96:
	.size	_Z25scatter_to_striped_kernelItjLj300ELj3EEvPT_PT0_Pj, .Lfunc_end96-_Z25scatter_to_striped_kernelItjLj300ELj3EEvPT_PT0_Pj
                                        ; -- End function
	.section	.AMDGPU.csdata,"",@progbits
; Kernel info:
; codeLenInByte = 200
; NumSgprs: 14
; NumVgprs: 9
; NumAgprs: 0
; TotalNumVgprs: 9
; ScratchSize: 0
; MemoryBound: 0
; FloatMode: 240
; IeeeMode: 1
; LDSByteSize: 608 bytes/workgroup (compile time only)
; SGPRBlocks: 1
; VGPRBlocks: 1
; NumSGPRsForWavesPerEU: 14
; NumVGPRsForWavesPerEU: 9
; AccumOffset: 12
; Occupancy: 8
; WaveLimiterHint : 0
; COMPUTE_PGM_RSRC2:SCRATCH_EN: 0
; COMPUTE_PGM_RSRC2:USER_SGPR: 6
; COMPUTE_PGM_RSRC2:TRAP_HANDLER: 0
; COMPUTE_PGM_RSRC2:TGID_X_EN: 1
; COMPUTE_PGM_RSRC2:TGID_Y_EN: 0
; COMPUTE_PGM_RSRC2:TGID_Z_EN: 0
; COMPUTE_PGM_RSRC2:TIDIG_COMP_CNT: 0
; COMPUTE_PGM_RSRC3_GFX90A:ACCUM_OFFSET: 2
; COMPUTE_PGM_RSRC3_GFX90A:TG_SPLIT: 0
	.section	.text._Z25scatter_to_striped_kernelIc5dummyIdELj928ELj2EEvPT_PT0_Pj,"axG",@progbits,_Z25scatter_to_striped_kernelIc5dummyIdELj928ELj2EEvPT_PT0_Pj,comdat
	.protected	_Z25scatter_to_striped_kernelIc5dummyIdELj928ELj2EEvPT_PT0_Pj ; -- Begin function _Z25scatter_to_striped_kernelIc5dummyIdELj928ELj2EEvPT_PT0_Pj
	.globl	_Z25scatter_to_striped_kernelIc5dummyIdELj928ELj2EEvPT_PT0_Pj
	.p2align	8
	.type	_Z25scatter_to_striped_kernelIc5dummyIdELj928ELj2EEvPT_PT0_Pj,@function
_Z25scatter_to_striped_kernelIc5dummyIdELj928ELj2EEvPT_PT0_Pj: ; @_Z25scatter_to_striped_kernelIc5dummyIdELj928ELj2EEvPT_PT0_Pj
; %bb.0:
	s_load_dwordx4 s[0:3], s[4:5], 0x0
	s_load_dwordx2 s[8:9], s[4:5], 0x10
	s_mul_i32 s4, s6, 0x3a0
	s_mov_b32 s5, 0
	v_lshlrev_b32_e32 v1, 1, v0
	s_waitcnt lgkmcnt(0)
	s_add_u32 s0, s0, s4
	s_addc_u32 s1, s1, 0
	global_load_ushort v1, v1, s[0:1]
	s_lshl_b64 s[0:1], s[4:5], 2
	s_add_u32 s0, s8, s0
	s_addc_u32 s1, s9, s1
	v_lshlrev_b32_e32 v2, 3, v0
	global_load_dwordx2 v[2:3], v2, s[0:1]
	v_lshlrev_b32_e32 v8, 5, v0
	s_lshl_b64 s[0:1], s[4:5], 4
	s_add_u32 s0, s2, s0
	s_addc_u32 s1, s3, s1
	s_waitcnt vmcnt(1)
	v_lshrrev_b16_e32 v4, 8, v1
	s_waitcnt vmcnt(0)
	ds_write_b8 v2, v1
	ds_write_b8 v3, v4
	s_waitcnt lgkmcnt(0)
	s_barrier
	ds_read_i8 v1, v0
	ds_read_i8 v0, v0 offset:464
	s_waitcnt lgkmcnt(1)
	v_add_u32_e32 v2, 1, v1
	v_lshlrev_b32_e32 v3, 1, v1
	s_waitcnt lgkmcnt(0)
	v_add_u32_e32 v4, 1, v0
	v_lshlrev_b32_e32 v6, 1, v0
	v_cvt_f64_i32_e32 v[0:1], v2
	v_cvt_f64_i32_e32 v[2:3], v3
	;; [unrolled: 1-line block ×4, first 2 shown]
	global_store_dwordx4 v8, v[0:3], s[0:1]
	global_store_dwordx4 v8, v[4:7], s[0:1] offset:16
	s_endpgm
	.section	.rodata,"a",@progbits
	.p2align	6, 0x0
	.amdhsa_kernel _Z25scatter_to_striped_kernelIc5dummyIdELj928ELj2EEvPT_PT0_Pj
		.amdhsa_group_segment_fixed_size 960
		.amdhsa_private_segment_fixed_size 0
		.amdhsa_kernarg_size 24
		.amdhsa_user_sgpr_count 6
		.amdhsa_user_sgpr_private_segment_buffer 1
		.amdhsa_user_sgpr_dispatch_ptr 0
		.amdhsa_user_sgpr_queue_ptr 0
		.amdhsa_user_sgpr_kernarg_segment_ptr 1
		.amdhsa_user_sgpr_dispatch_id 0
		.amdhsa_user_sgpr_flat_scratch_init 0
		.amdhsa_user_sgpr_kernarg_preload_length 0
		.amdhsa_user_sgpr_kernarg_preload_offset 0
		.amdhsa_user_sgpr_private_segment_size 0
		.amdhsa_uses_dynamic_stack 0
		.amdhsa_system_sgpr_private_segment_wavefront_offset 0
		.amdhsa_system_sgpr_workgroup_id_x 1
		.amdhsa_system_sgpr_workgroup_id_y 0
		.amdhsa_system_sgpr_workgroup_id_z 0
		.amdhsa_system_sgpr_workgroup_info 0
		.amdhsa_system_vgpr_workitem_id 0
		.amdhsa_next_free_vgpr 9
		.amdhsa_next_free_sgpr 10
		.amdhsa_accum_offset 12
		.amdhsa_reserve_vcc 0
		.amdhsa_reserve_flat_scratch 0
		.amdhsa_float_round_mode_32 0
		.amdhsa_float_round_mode_16_64 0
		.amdhsa_float_denorm_mode_32 3
		.amdhsa_float_denorm_mode_16_64 3
		.amdhsa_dx10_clamp 1
		.amdhsa_ieee_mode 1
		.amdhsa_fp16_overflow 0
		.amdhsa_tg_split 0
		.amdhsa_exception_fp_ieee_invalid_op 0
		.amdhsa_exception_fp_denorm_src 0
		.amdhsa_exception_fp_ieee_div_zero 0
		.amdhsa_exception_fp_ieee_overflow 0
		.amdhsa_exception_fp_ieee_underflow 0
		.amdhsa_exception_fp_ieee_inexact 0
		.amdhsa_exception_int_div_zero 0
	.end_amdhsa_kernel
	.section	.text._Z25scatter_to_striped_kernelIc5dummyIdELj928ELj2EEvPT_PT0_Pj,"axG",@progbits,_Z25scatter_to_striped_kernelIc5dummyIdELj928ELj2EEvPT_PT0_Pj,comdat
.Lfunc_end97:
	.size	_Z25scatter_to_striped_kernelIc5dummyIdELj928ELj2EEvPT_PT0_Pj, .Lfunc_end97-_Z25scatter_to_striped_kernelIc5dummyIdELj928ELj2EEvPT_PT0_Pj
                                        ; -- End function
	.section	.AMDGPU.csdata,"",@progbits
; Kernel info:
; codeLenInByte = 204
; NumSgprs: 14
; NumVgprs: 9
; NumAgprs: 0
; TotalNumVgprs: 9
; ScratchSize: 0
; MemoryBound: 0
; FloatMode: 240
; IeeeMode: 1
; LDSByteSize: 960 bytes/workgroup (compile time only)
; SGPRBlocks: 1
; VGPRBlocks: 1
; NumSGPRsForWavesPerEU: 14
; NumVGPRsForWavesPerEU: 9
; AccumOffset: 12
; Occupancy: 8
; WaveLimiterHint : 0
; COMPUTE_PGM_RSRC2:SCRATCH_EN: 0
; COMPUTE_PGM_RSRC2:USER_SGPR: 6
; COMPUTE_PGM_RSRC2:TRAP_HANDLER: 0
; COMPUTE_PGM_RSRC2:TGID_X_EN: 1
; COMPUTE_PGM_RSRC2:TGID_Y_EN: 0
; COMPUTE_PGM_RSRC2:TGID_Z_EN: 0
; COMPUTE_PGM_RSRC2:TIDIG_COMP_CNT: 0
; COMPUTE_PGM_RSRC3_GFX90A:ACCUM_OFFSET: 2
; COMPUTE_PGM_RSRC3_GFX90A:TG_SPLIT: 0
	.section	.text._Z25scatter_to_striped_kernelIfiLj165ELj5EEvPT_PT0_Pj,"axG",@progbits,_Z25scatter_to_striped_kernelIfiLj165ELj5EEvPT_PT0_Pj,comdat
	.protected	_Z25scatter_to_striped_kernelIfiLj165ELj5EEvPT_PT0_Pj ; -- Begin function _Z25scatter_to_striped_kernelIfiLj165ELj5EEvPT_PT0_Pj
	.globl	_Z25scatter_to_striped_kernelIfiLj165ELj5EEvPT_PT0_Pj
	.p2align	8
	.type	_Z25scatter_to_striped_kernelIfiLj165ELj5EEvPT_PT0_Pj,@function
_Z25scatter_to_striped_kernelIfiLj165ELj5EEvPT_PT0_Pj: ; @_Z25scatter_to_striped_kernelIfiLj165ELj5EEvPT_PT0_Pj
; %bb.0:
	s_load_dwordx4 s[0:3], s[4:5], 0x0
	s_load_dwordx2 s[8:9], s[4:5], 0x10
	s_mul_i32 s4, s6, 0xa5
	s_mov_b32 s5, 0
	s_lshl_b64 s[4:5], s[4:5], 2
	s_waitcnt lgkmcnt(0)
	s_add_u32 s0, s0, s4
	s_addc_u32 s1, s1, s5
	v_mul_u32_u24_e32 v1, 5, v0
	s_add_u32 s6, s8, s4
	v_lshlrev_b32_e32 v10, 2, v1
	s_addc_u32 s7, s9, s5
	global_load_dwordx4 v[2:5], v10, s[6:7]
	global_load_dword v1, v10, s[6:7] offset:16
	global_load_dwordx4 v[6:9], v10, s[0:1]
	global_load_dword v11, v10, s[0:1] offset:16
	v_lshlrev_b32_e32 v12, 2, v0
	s_add_u32 s0, s2, s4
	s_addc_u32 s1, s3, s5
	s_waitcnt vmcnt(3)
	v_lshlrev_b32_e32 v0, 2, v2
	v_lshlrev_b32_e32 v2, 2, v3
	;; [unrolled: 1-line block ×4, first 2 shown]
	s_waitcnt vmcnt(2)
	v_lshlrev_b32_e32 v1, 2, v1
	s_waitcnt vmcnt(1)
	ds_write_b32 v0, v6
	ds_write_b32 v2, v7
	;; [unrolled: 1-line block ×4, first 2 shown]
	s_waitcnt vmcnt(0)
	ds_write_b32 v1, v11
	s_waitcnt lgkmcnt(0)
	s_barrier
	ds_read2_b32 v[0:1], v12 offset1:33
	ds_read2_b32 v[2:3], v12 offset0:66 offset1:99
	ds_read_b32 v4, v12 offset:528
	s_waitcnt lgkmcnt(2)
	v_cvt_i32_f32_e32 v1, v1
	v_cvt_i32_f32_e32 v0, v0
	s_waitcnt lgkmcnt(1)
	v_cvt_i32_f32_e32 v3, v3
	v_cvt_i32_f32_e32 v2, v2
	s_waitcnt lgkmcnt(0)
	v_cvt_i32_f32_e32 v4, v4
	global_store_dwordx4 v10, v[0:3], s[0:1]
	global_store_dword v10, v4, s[0:1] offset:16
	s_endpgm
	.section	.rodata,"a",@progbits
	.p2align	6, 0x0
	.amdhsa_kernel _Z25scatter_to_striped_kernelIfiLj165ELj5EEvPT_PT0_Pj
		.amdhsa_group_segment_fixed_size 672
		.amdhsa_private_segment_fixed_size 0
		.amdhsa_kernarg_size 24
		.amdhsa_user_sgpr_count 6
		.amdhsa_user_sgpr_private_segment_buffer 1
		.amdhsa_user_sgpr_dispatch_ptr 0
		.amdhsa_user_sgpr_queue_ptr 0
		.amdhsa_user_sgpr_kernarg_segment_ptr 1
		.amdhsa_user_sgpr_dispatch_id 0
		.amdhsa_user_sgpr_flat_scratch_init 0
		.amdhsa_user_sgpr_kernarg_preload_length 0
		.amdhsa_user_sgpr_kernarg_preload_offset 0
		.amdhsa_user_sgpr_private_segment_size 0
		.amdhsa_uses_dynamic_stack 0
		.amdhsa_system_sgpr_private_segment_wavefront_offset 0
		.amdhsa_system_sgpr_workgroup_id_x 1
		.amdhsa_system_sgpr_workgroup_id_y 0
		.amdhsa_system_sgpr_workgroup_id_z 0
		.amdhsa_system_sgpr_workgroup_info 0
		.amdhsa_system_vgpr_workitem_id 0
		.amdhsa_next_free_vgpr 13
		.amdhsa_next_free_sgpr 10
		.amdhsa_accum_offset 16
		.amdhsa_reserve_vcc 0
		.amdhsa_reserve_flat_scratch 0
		.amdhsa_float_round_mode_32 0
		.amdhsa_float_round_mode_16_64 0
		.amdhsa_float_denorm_mode_32 3
		.amdhsa_float_denorm_mode_16_64 3
		.amdhsa_dx10_clamp 1
		.amdhsa_ieee_mode 1
		.amdhsa_fp16_overflow 0
		.amdhsa_tg_split 0
		.amdhsa_exception_fp_ieee_invalid_op 0
		.amdhsa_exception_fp_denorm_src 0
		.amdhsa_exception_fp_ieee_div_zero 0
		.amdhsa_exception_fp_ieee_overflow 0
		.amdhsa_exception_fp_ieee_underflow 0
		.amdhsa_exception_fp_ieee_inexact 0
		.amdhsa_exception_int_div_zero 0
	.end_amdhsa_kernel
	.section	.text._Z25scatter_to_striped_kernelIfiLj165ELj5EEvPT_PT0_Pj,"axG",@progbits,_Z25scatter_to_striped_kernelIfiLj165ELj5EEvPT_PT0_Pj,comdat
.Lfunc_end98:
	.size	_Z25scatter_to_striped_kernelIfiLj165ELj5EEvPT_PT0_Pj, .Lfunc_end98-_Z25scatter_to_striped_kernelIfiLj165ELj5EEvPT_PT0_Pj
                                        ; -- End function
	.section	.AMDGPU.csdata,"",@progbits
; Kernel info:
; codeLenInByte = 264
; NumSgprs: 14
; NumVgprs: 13
; NumAgprs: 0
; TotalNumVgprs: 13
; ScratchSize: 0
; MemoryBound: 0
; FloatMode: 240
; IeeeMode: 1
; LDSByteSize: 672 bytes/workgroup (compile time only)
; SGPRBlocks: 1
; VGPRBlocks: 1
; NumSGPRsForWavesPerEU: 14
; NumVGPRsForWavesPerEU: 13
; AccumOffset: 16
; Occupancy: 8
; WaveLimiterHint : 0
; COMPUTE_PGM_RSRC2:SCRATCH_EN: 0
; COMPUTE_PGM_RSRC2:USER_SGPR: 6
; COMPUTE_PGM_RSRC2:TRAP_HANDLER: 0
; COMPUTE_PGM_RSRC2:TGID_X_EN: 1
; COMPUTE_PGM_RSRC2:TGID_Y_EN: 0
; COMPUTE_PGM_RSRC2:TGID_Z_EN: 0
; COMPUTE_PGM_RSRC2:TIDIG_COMP_CNT: 0
; COMPUTE_PGM_RSRC3_GFX90A:ACCUM_OFFSET: 3
; COMPUTE_PGM_RSRC3_GFX90A:TG_SPLIT: 0
	.section	.text._Z25scatter_to_striped_kernelIidLj165ELj5EEvPT_PT0_Pj,"axG",@progbits,_Z25scatter_to_striped_kernelIidLj165ELj5EEvPT_PT0_Pj,comdat
	.protected	_Z25scatter_to_striped_kernelIidLj165ELj5EEvPT_PT0_Pj ; -- Begin function _Z25scatter_to_striped_kernelIidLj165ELj5EEvPT_PT0_Pj
	.globl	_Z25scatter_to_striped_kernelIidLj165ELj5EEvPT_PT0_Pj
	.p2align	8
	.type	_Z25scatter_to_striped_kernelIidLj165ELj5EEvPT_PT0_Pj,@function
_Z25scatter_to_striped_kernelIidLj165ELj5EEvPT_PT0_Pj: ; @_Z25scatter_to_striped_kernelIidLj165ELj5EEvPT_PT0_Pj
; %bb.0:
	s_load_dwordx4 s[0:3], s[4:5], 0x0
	s_load_dwordx2 s[8:9], s[4:5], 0x10
	s_mul_i32 s4, s6, 0xa5
	s_mov_b32 s5, 0
	s_lshl_b64 s[6:7], s[4:5], 2
	s_waitcnt lgkmcnt(0)
	s_add_u32 s0, s0, s6
	s_addc_u32 s1, s1, s7
	v_mul_u32_u24_e32 v1, 5, v0
	s_add_u32 s6, s8, s6
	v_lshlrev_b32_e32 v10, 2, v1
	s_addc_u32 s7, s9, s7
	global_load_dwordx4 v[2:5], v10, s[6:7]
	global_load_dword v11, v10, s[6:7] offset:16
	global_load_dwordx4 v[6:9], v10, s[0:1]
	global_load_dword v12, v10, s[0:1] offset:16
	v_lshlrev_b32_e32 v0, 2, v0
	v_lshlrev_b32_e32 v10, 3, v1
	s_lshl_b64 s[0:1], s[4:5], 3
	s_add_u32 s0, s2, s0
	s_addc_u32 s1, s3, s1
	s_waitcnt vmcnt(3)
	v_lshlrev_b32_e32 v1, 2, v2
	v_lshlrev_b32_e32 v2, 2, v3
	v_lshlrev_b32_e32 v3, 2, v4
	v_lshlrev_b32_e32 v4, 2, v5
	s_waitcnt vmcnt(2)
	v_lshlrev_b32_e32 v5, 2, v11
	s_waitcnt vmcnt(1)
	ds_write_b32 v1, v6
	ds_write_b32 v2, v7
	ds_write_b32 v3, v8
	ds_write_b32 v4, v9
	s_waitcnt vmcnt(0)
	ds_write_b32 v5, v12
	s_waitcnt lgkmcnt(0)
	s_barrier
	ds_read2_b32 v[2:3], v0 offset1:33
	ds_read2_b32 v[6:7], v0 offset0:66 offset1:99
	ds_read_b32 v8, v0 offset:528
	s_waitcnt lgkmcnt(2)
	v_cvt_f64_i32_e32 v[0:1], v2
	v_cvt_f64_i32_e32 v[2:3], v3
	s_waitcnt lgkmcnt(1)
	v_cvt_f64_i32_e32 v[4:5], v6
	v_cvt_f64_i32_e32 v[6:7], v7
	s_waitcnt lgkmcnt(0)
	v_cvt_f64_i32_e32 v[8:9], v8
	global_store_dwordx4 v10, v[0:3], s[0:1]
	global_store_dwordx4 v10, v[4:7], s[0:1] offset:16
	global_store_dwordx2 v10, v[8:9], s[0:1] offset:32
	s_endpgm
	.section	.rodata,"a",@progbits
	.p2align	6, 0x0
	.amdhsa_kernel _Z25scatter_to_striped_kernelIidLj165ELj5EEvPT_PT0_Pj
		.amdhsa_group_segment_fixed_size 672
		.amdhsa_private_segment_fixed_size 0
		.amdhsa_kernarg_size 24
		.amdhsa_user_sgpr_count 6
		.amdhsa_user_sgpr_private_segment_buffer 1
		.amdhsa_user_sgpr_dispatch_ptr 0
		.amdhsa_user_sgpr_queue_ptr 0
		.amdhsa_user_sgpr_kernarg_segment_ptr 1
		.amdhsa_user_sgpr_dispatch_id 0
		.amdhsa_user_sgpr_flat_scratch_init 0
		.amdhsa_user_sgpr_kernarg_preload_length 0
		.amdhsa_user_sgpr_kernarg_preload_offset 0
		.amdhsa_user_sgpr_private_segment_size 0
		.amdhsa_uses_dynamic_stack 0
		.amdhsa_system_sgpr_private_segment_wavefront_offset 0
		.amdhsa_system_sgpr_workgroup_id_x 1
		.amdhsa_system_sgpr_workgroup_id_y 0
		.amdhsa_system_sgpr_workgroup_id_z 0
		.amdhsa_system_sgpr_workgroup_info 0
		.amdhsa_system_vgpr_workitem_id 0
		.amdhsa_next_free_vgpr 13
		.amdhsa_next_free_sgpr 10
		.amdhsa_accum_offset 16
		.amdhsa_reserve_vcc 0
		.amdhsa_reserve_flat_scratch 0
		.amdhsa_float_round_mode_32 0
		.amdhsa_float_round_mode_16_64 0
		.amdhsa_float_denorm_mode_32 3
		.amdhsa_float_denorm_mode_16_64 3
		.amdhsa_dx10_clamp 1
		.amdhsa_ieee_mode 1
		.amdhsa_fp16_overflow 0
		.amdhsa_tg_split 0
		.amdhsa_exception_fp_ieee_invalid_op 0
		.amdhsa_exception_fp_denorm_src 0
		.amdhsa_exception_fp_ieee_div_zero 0
		.amdhsa_exception_fp_ieee_overflow 0
		.amdhsa_exception_fp_ieee_underflow 0
		.amdhsa_exception_fp_ieee_inexact 0
		.amdhsa_exception_int_div_zero 0
	.end_amdhsa_kernel
	.section	.text._Z25scatter_to_striped_kernelIidLj165ELj5EEvPT_PT0_Pj,"axG",@progbits,_Z25scatter_to_striped_kernelIidLj165ELj5EEvPT_PT0_Pj,comdat
.Lfunc_end99:
	.size	_Z25scatter_to_striped_kernelIidLj165ELj5EEvPT_PT0_Pj, .Lfunc_end99-_Z25scatter_to_striped_kernelIidLj165ELj5EEvPT_PT0_Pj
                                        ; -- End function
	.section	.AMDGPU.csdata,"",@progbits
; Kernel info:
; codeLenInByte = 280
; NumSgprs: 14
; NumVgprs: 13
; NumAgprs: 0
; TotalNumVgprs: 13
; ScratchSize: 0
; MemoryBound: 0
; FloatMode: 240
; IeeeMode: 1
; LDSByteSize: 672 bytes/workgroup (compile time only)
; SGPRBlocks: 1
; VGPRBlocks: 1
; NumSGPRsForWavesPerEU: 14
; NumVGPRsForWavesPerEU: 13
; AccumOffset: 16
; Occupancy: 8
; WaveLimiterHint : 0
; COMPUTE_PGM_RSRC2:SCRATCH_EN: 0
; COMPUTE_PGM_RSRC2:USER_SGPR: 6
; COMPUTE_PGM_RSRC2:TRAP_HANDLER: 0
; COMPUTE_PGM_RSRC2:TGID_X_EN: 1
; COMPUTE_PGM_RSRC2:TGID_Y_EN: 0
; COMPUTE_PGM_RSRC2:TGID_Z_EN: 0
; COMPUTE_PGM_RSRC2:TIDIG_COMP_CNT: 0
; COMPUTE_PGM_RSRC3_GFX90A:ACCUM_OFFSET: 3
; COMPUTE_PGM_RSRC3_GFX90A:TG_SPLIT: 0
	.section	.text._Z25scatter_to_striped_kernelIyyLj192ELj3EEvPT_PT0_Pj,"axG",@progbits,_Z25scatter_to_striped_kernelIyyLj192ELj3EEvPT_PT0_Pj,comdat
	.protected	_Z25scatter_to_striped_kernelIyyLj192ELj3EEvPT_PT0_Pj ; -- Begin function _Z25scatter_to_striped_kernelIyyLj192ELj3EEvPT_PT0_Pj
	.globl	_Z25scatter_to_striped_kernelIyyLj192ELj3EEvPT_PT0_Pj
	.p2align	8
	.type	_Z25scatter_to_striped_kernelIyyLj192ELj3EEvPT_PT0_Pj,@function
_Z25scatter_to_striped_kernelIyyLj192ELj3EEvPT_PT0_Pj: ; @_Z25scatter_to_striped_kernelIyyLj192ELj3EEvPT_PT0_Pj
; %bb.0:
	s_load_dwordx4 s[0:3], s[4:5], 0x0
	s_load_dwordx2 s[8:9], s[4:5], 0x10
	s_mul_i32 s4, s6, 0xc0
	s_mov_b32 s5, 0
	s_lshl_b64 s[6:7], s[4:5], 3
	s_waitcnt lgkmcnt(0)
	s_add_u32 s0, s0, s6
	s_addc_u32 s1, s1, s7
	s_lshl_b64 s[4:5], s[4:5], 2
	v_mul_u32_u24_e32 v1, 3, v0
	s_add_u32 s4, s8, s4
	s_addc_u32 s5, s9, s5
	v_lshlrev_b32_e32 v2, 2, v1
	global_load_dwordx3 v[6:8], v2, s[4:5]
	v_lshlrev_b32_e32 v9, 3, v1
	global_load_dwordx4 v[2:5], v9, s[0:1]
	global_load_dwordx2 v[10:11], v9, s[0:1] offset:16
	v_lshlrev_b32_e32 v12, 3, v0
	s_add_u32 s0, s2, s6
	s_addc_u32 s1, s3, s7
	s_waitcnt vmcnt(2)
	v_lshlrev_b32_e32 v0, 3, v6
	v_lshlrev_b32_e32 v1, 3, v7
	v_lshlrev_b32_e32 v6, 3, v8
	s_waitcnt vmcnt(1)
	ds_write_b64 v0, v[2:3]
	ds_write_b64 v1, v[4:5]
	s_waitcnt vmcnt(0)
	ds_write_b64 v6, v[10:11]
	s_waitcnt lgkmcnt(0)
	s_barrier
	ds_read2st64_b64 v[0:3], v12 offset1:1
	ds_read_b64 v[4:5], v12 offset:1024
	s_waitcnt lgkmcnt(1)
	global_store_dwordx4 v9, v[0:3], s[0:1]
	s_waitcnt lgkmcnt(0)
	global_store_dwordx2 v9, v[4:5], s[0:1] offset:16
	s_endpgm
	.section	.rodata,"a",@progbits
	.p2align	6, 0x0
	.amdhsa_kernel _Z25scatter_to_striped_kernelIyyLj192ELj3EEvPT_PT0_Pj
		.amdhsa_group_segment_fixed_size 1536
		.amdhsa_private_segment_fixed_size 0
		.amdhsa_kernarg_size 24
		.amdhsa_user_sgpr_count 6
		.amdhsa_user_sgpr_private_segment_buffer 1
		.amdhsa_user_sgpr_dispatch_ptr 0
		.amdhsa_user_sgpr_queue_ptr 0
		.amdhsa_user_sgpr_kernarg_segment_ptr 1
		.amdhsa_user_sgpr_dispatch_id 0
		.amdhsa_user_sgpr_flat_scratch_init 0
		.amdhsa_user_sgpr_kernarg_preload_length 0
		.amdhsa_user_sgpr_kernarg_preload_offset 0
		.amdhsa_user_sgpr_private_segment_size 0
		.amdhsa_uses_dynamic_stack 0
		.amdhsa_system_sgpr_private_segment_wavefront_offset 0
		.amdhsa_system_sgpr_workgroup_id_x 1
		.amdhsa_system_sgpr_workgroup_id_y 0
		.amdhsa_system_sgpr_workgroup_id_z 0
		.amdhsa_system_sgpr_workgroup_info 0
		.amdhsa_system_vgpr_workitem_id 0
		.amdhsa_next_free_vgpr 13
		.amdhsa_next_free_sgpr 10
		.amdhsa_accum_offset 16
		.amdhsa_reserve_vcc 0
		.amdhsa_reserve_flat_scratch 0
		.amdhsa_float_round_mode_32 0
		.amdhsa_float_round_mode_16_64 0
		.amdhsa_float_denorm_mode_32 3
		.amdhsa_float_denorm_mode_16_64 3
		.amdhsa_dx10_clamp 1
		.amdhsa_ieee_mode 1
		.amdhsa_fp16_overflow 0
		.amdhsa_tg_split 0
		.amdhsa_exception_fp_ieee_invalid_op 0
		.amdhsa_exception_fp_denorm_src 0
		.amdhsa_exception_fp_ieee_div_zero 0
		.amdhsa_exception_fp_ieee_overflow 0
		.amdhsa_exception_fp_ieee_underflow 0
		.amdhsa_exception_fp_ieee_inexact 0
		.amdhsa_exception_int_div_zero 0
	.end_amdhsa_kernel
	.section	.text._Z25scatter_to_striped_kernelIyyLj192ELj3EEvPT_PT0_Pj,"axG",@progbits,_Z25scatter_to_striped_kernelIyyLj192ELj3EEvPT_PT0_Pj,comdat
.Lfunc_end100:
	.size	_Z25scatter_to_striped_kernelIyyLj192ELj3EEvPT_PT0_Pj, .Lfunc_end100-_Z25scatter_to_striped_kernelIyyLj192ELj3EEvPT_PT0_Pj
                                        ; -- End function
	.section	.AMDGPU.csdata,"",@progbits
; Kernel info:
; codeLenInByte = 204
; NumSgprs: 14
; NumVgprs: 13
; NumAgprs: 0
; TotalNumVgprs: 13
; ScratchSize: 0
; MemoryBound: 1
; FloatMode: 240
; IeeeMode: 1
; LDSByteSize: 1536 bytes/workgroup (compile time only)
; SGPRBlocks: 1
; VGPRBlocks: 1
; NumSGPRsForWavesPerEU: 14
; NumVGPRsForWavesPerEU: 13
; AccumOffset: 16
; Occupancy: 8
; WaveLimiterHint : 1
; COMPUTE_PGM_RSRC2:SCRATCH_EN: 0
; COMPUTE_PGM_RSRC2:USER_SGPR: 6
; COMPUTE_PGM_RSRC2:TRAP_HANDLER: 0
; COMPUTE_PGM_RSRC2:TGID_X_EN: 1
; COMPUTE_PGM_RSRC2:TGID_Y_EN: 0
; COMPUTE_PGM_RSRC2:TGID_Z_EN: 0
; COMPUTE_PGM_RSRC2:TIDIG_COMP_CNT: 0
; COMPUTE_PGM_RSRC3_GFX90A:ACCUM_OFFSET: 3
; COMPUTE_PGM_RSRC3_GFX90A:TG_SPLIT: 0
	.section	.text._Z25scatter_to_striped_kernelIiiLj384ELj3EEvPT_PT0_Pj,"axG",@progbits,_Z25scatter_to_striped_kernelIiiLj384ELj3EEvPT_PT0_Pj,comdat
	.protected	_Z25scatter_to_striped_kernelIiiLj384ELj3EEvPT_PT0_Pj ; -- Begin function _Z25scatter_to_striped_kernelIiiLj384ELj3EEvPT_PT0_Pj
	.globl	_Z25scatter_to_striped_kernelIiiLj384ELj3EEvPT_PT0_Pj
	.p2align	8
	.type	_Z25scatter_to_striped_kernelIiiLj384ELj3EEvPT_PT0_Pj,@function
_Z25scatter_to_striped_kernelIiiLj384ELj3EEvPT_PT0_Pj: ; @_Z25scatter_to_striped_kernelIiiLj384ELj3EEvPT_PT0_Pj
; %bb.0:
	s_load_dwordx4 s[0:3], s[4:5], 0x0
	s_load_dwordx2 s[8:9], s[4:5], 0x10
	s_mul_i32 s4, s6, 0x180
	s_mov_b32 s5, 0
	s_lshl_b64 s[4:5], s[4:5], 2
	s_waitcnt lgkmcnt(0)
	s_add_u32 s0, s0, s4
	s_addc_u32 s1, s1, s5
	v_mul_u32_u24_e32 v1, 3, v0
	s_add_u32 s6, s8, s4
	v_lshlrev_b32_e32 v5, 2, v1
	s_addc_u32 s7, s9, s5
	global_load_dwordx3 v[2:4], v5, s[6:7]
	global_load_dwordx3 v[6:8], v5, s[0:1]
	v_lshlrev_b32_e32 v9, 2, v0
	s_add_u32 s0, s2, s4
	s_addc_u32 s1, s3, s5
	s_waitcnt vmcnt(1)
	v_lshlrev_b32_e32 v0, 2, v2
	v_lshlrev_b32_e32 v1, 2, v3
	;; [unrolled: 1-line block ×3, first 2 shown]
	s_waitcnt vmcnt(0)
	ds_write_b32 v0, v6
	ds_write_b32 v1, v7
	;; [unrolled: 1-line block ×3, first 2 shown]
	s_waitcnt lgkmcnt(0)
	s_barrier
	ds_read2st64_b32 v[0:1], v9 offset1:2
	ds_read_b32 v2, v9 offset:1024
	s_waitcnt lgkmcnt(0)
	global_store_dwordx3 v5, v[0:2], s[0:1]
	s_endpgm
	.section	.rodata,"a",@progbits
	.p2align	6, 0x0
	.amdhsa_kernel _Z25scatter_to_striped_kernelIiiLj384ELj3EEvPT_PT0_Pj
		.amdhsa_group_segment_fixed_size 1536
		.amdhsa_private_segment_fixed_size 0
		.amdhsa_kernarg_size 24
		.amdhsa_user_sgpr_count 6
		.amdhsa_user_sgpr_private_segment_buffer 1
		.amdhsa_user_sgpr_dispatch_ptr 0
		.amdhsa_user_sgpr_queue_ptr 0
		.amdhsa_user_sgpr_kernarg_segment_ptr 1
		.amdhsa_user_sgpr_dispatch_id 0
		.amdhsa_user_sgpr_flat_scratch_init 0
		.amdhsa_user_sgpr_kernarg_preload_length 0
		.amdhsa_user_sgpr_kernarg_preload_offset 0
		.amdhsa_user_sgpr_private_segment_size 0
		.amdhsa_uses_dynamic_stack 0
		.amdhsa_system_sgpr_private_segment_wavefront_offset 0
		.amdhsa_system_sgpr_workgroup_id_x 1
		.amdhsa_system_sgpr_workgroup_id_y 0
		.amdhsa_system_sgpr_workgroup_id_z 0
		.amdhsa_system_sgpr_workgroup_info 0
		.amdhsa_system_vgpr_workitem_id 0
		.amdhsa_next_free_vgpr 10
		.amdhsa_next_free_sgpr 10
		.amdhsa_accum_offset 12
		.amdhsa_reserve_vcc 0
		.amdhsa_reserve_flat_scratch 0
		.amdhsa_float_round_mode_32 0
		.amdhsa_float_round_mode_16_64 0
		.amdhsa_float_denorm_mode_32 3
		.amdhsa_float_denorm_mode_16_64 3
		.amdhsa_dx10_clamp 1
		.amdhsa_ieee_mode 1
		.amdhsa_fp16_overflow 0
		.amdhsa_tg_split 0
		.amdhsa_exception_fp_ieee_invalid_op 0
		.amdhsa_exception_fp_denorm_src 0
		.amdhsa_exception_fp_ieee_div_zero 0
		.amdhsa_exception_fp_ieee_overflow 0
		.amdhsa_exception_fp_ieee_underflow 0
		.amdhsa_exception_fp_ieee_inexact 0
		.amdhsa_exception_int_div_zero 0
	.end_amdhsa_kernel
	.section	.text._Z25scatter_to_striped_kernelIiiLj384ELj3EEvPT_PT0_Pj,"axG",@progbits,_Z25scatter_to_striped_kernelIiiLj384ELj3EEvPT_PT0_Pj,comdat
.Lfunc_end101:
	.size	_Z25scatter_to_striped_kernelIiiLj384ELj3EEvPT_PT0_Pj, .Lfunc_end101-_Z25scatter_to_striped_kernelIiiLj384ELj3EEvPT_PT0_Pj
                                        ; -- End function
	.section	.AMDGPU.csdata,"",@progbits
; Kernel info:
; codeLenInByte = 172
; NumSgprs: 14
; NumVgprs: 10
; NumAgprs: 0
; TotalNumVgprs: 10
; ScratchSize: 0
; MemoryBound: 0
; FloatMode: 240
; IeeeMode: 1
; LDSByteSize: 1536 bytes/workgroup (compile time only)
; SGPRBlocks: 1
; VGPRBlocks: 1
; NumSGPRsForWavesPerEU: 14
; NumVGPRsForWavesPerEU: 10
; AccumOffset: 12
; Occupancy: 8
; WaveLimiterHint : 0
; COMPUTE_PGM_RSRC2:SCRATCH_EN: 0
; COMPUTE_PGM_RSRC2:USER_SGPR: 6
; COMPUTE_PGM_RSRC2:TRAP_HANDLER: 0
; COMPUTE_PGM_RSRC2:TGID_X_EN: 1
; COMPUTE_PGM_RSRC2:TGID_Y_EN: 0
; COMPUTE_PGM_RSRC2:TGID_Z_EN: 0
; COMPUTE_PGM_RSRC2:TIDIG_COMP_CNT: 0
; COMPUTE_PGM_RSRC3_GFX90A:ACCUM_OFFSET: 2
; COMPUTE_PGM_RSRC3_GFX90A:TG_SPLIT: 0
	.section	.text._Z25scatter_to_striped_kernelIs5dummyIfELj896ELj7EEvPT_PT0_Pj,"axG",@progbits,_Z25scatter_to_striped_kernelIs5dummyIfELj896ELj7EEvPT_PT0_Pj,comdat
	.protected	_Z25scatter_to_striped_kernelIs5dummyIfELj896ELj7EEvPT_PT0_Pj ; -- Begin function _Z25scatter_to_striped_kernelIs5dummyIfELj896ELj7EEvPT_PT0_Pj
	.globl	_Z25scatter_to_striped_kernelIs5dummyIfELj896ELj7EEvPT_PT0_Pj
	.p2align	8
	.type	_Z25scatter_to_striped_kernelIs5dummyIfELj896ELj7EEvPT_PT0_Pj,@function
_Z25scatter_to_striped_kernelIs5dummyIfELj896ELj7EEvPT_PT0_Pj: ; @_Z25scatter_to_striped_kernelIs5dummyIfELj896ELj7EEvPT_PT0_Pj
; %bb.0:
	s_load_dwordx4 s[0:3], s[4:5], 0x0
	s_load_dwordx2 s[8:9], s[4:5], 0x10
	s_mul_i32 s4, s6, 0x380
	s_mov_b32 s5, 0
	s_lshl_b64 s[6:7], s[4:5], 1
	s_waitcnt lgkmcnt(0)
	s_add_u32 s0, s0, s6
	s_addc_u32 s1, s1, s7
	s_lshl_b64 s[6:7], s[4:5], 2
	v_mul_u32_u24_e32 v1, 7, v0
	s_add_u32 s6, s8, s6
	s_addc_u32 s7, s9, s7
	v_lshlrev_b32_e32 v9, 2, v1
	global_load_dwordx4 v[2:5], v9, s[6:7]
	global_load_dwordx3 v[6:8], v9, s[6:7] offset:16
	v_lshlrev_b32_e32 v9, 1, v1
	global_load_dwordx3 v[10:12], v9, s[0:1]
	global_load_ushort v13, v9, s[0:1] offset:12
	v_lshlrev_b32_e32 v0, 1, v0
	v_lshlrev_b32_e32 v14, 3, v1
	s_lshl_b64 s[0:1], s[4:5], 3
	s_add_u32 s0, s2, s0
	s_addc_u32 s1, s3, s1
	s_waitcnt vmcnt(3)
	v_lshlrev_b32_e32 v1, 1, v2
	v_lshlrev_b32_e32 v2, 1, v3
	v_lshlrev_b32_e32 v3, 1, v4
	v_lshlrev_b32_e32 v4, 1, v5
	s_waitcnt vmcnt(2)
	v_lshlrev_b32_e32 v5, 1, v6
	v_lshlrev_b32_e32 v6, 1, v7
	;; [unrolled: 1-line block ×3, first 2 shown]
	s_waitcnt vmcnt(1)
	ds_write_b16 v1, v10
	ds_write_b16_d16_hi v2, v10
	ds_write_b16 v3, v11
	ds_write_b16_d16_hi v4, v11
	;; [unrolled: 2-line block ×3, first 2 shown]
	s_waitcnt vmcnt(0)
	ds_write_b16 v7, v13
	s_waitcnt lgkmcnt(0)
	s_barrier
	ds_read_i16 v1, v0
	ds_read_i16 v2, v0 offset:256
	ds_read_i16 v3, v0 offset:512
	ds_read_i16 v4, v0 offset:768
	ds_read_i16 v5, v0 offset:1024
	ds_read_i16 v6, v0 offset:1280
	ds_read_i16 v0, v0 offset:1536
	s_waitcnt lgkmcnt(6)
	v_add_u32_e32 v7, 1, v1
	v_lshlrev_b32_e32 v1, 1, v1
	s_waitcnt lgkmcnt(5)
	v_add_u32_e32 v8, 1, v2
	v_lshlrev_b32_e32 v2, 1, v2
	;; [unrolled: 3-line block ×5, first 2 shown]
	v_cvt_f32_i32_e32 v1, v1
	v_cvt_f32_i32_e32 v0, v7
	;; [unrolled: 1-line block ×4, first 2 shown]
	v_add_u32_e32 v13, 1, v5
	v_lshlrev_b32_e32 v15, 1, v5
	v_add_u32_e32 v16, 1, v6
	v_lshlrev_b32_e32 v17, 1, v6
	v_cvt_f32_i32_e32 v5, v10
	v_cvt_f32_i32_e32 v4, v9
	;; [unrolled: 1-line block ×10, first 2 shown]
	global_store_dwordx4 v14, v[0:3], s[0:1]
	global_store_dwordx4 v14, v[4:7], s[0:1] offset:16
	global_store_dwordx4 v14, v[8:11], s[0:1] offset:32
	global_store_dwordx2 v14, v[12:13], s[0:1] offset:48
	s_endpgm
	.section	.rodata,"a",@progbits
	.p2align	6, 0x0
	.amdhsa_kernel _Z25scatter_to_striped_kernelIs5dummyIfELj896ELj7EEvPT_PT0_Pj
		.amdhsa_group_segment_fixed_size 1792
		.amdhsa_private_segment_fixed_size 0
		.amdhsa_kernarg_size 24
		.amdhsa_user_sgpr_count 6
		.amdhsa_user_sgpr_private_segment_buffer 1
		.amdhsa_user_sgpr_dispatch_ptr 0
		.amdhsa_user_sgpr_queue_ptr 0
		.amdhsa_user_sgpr_kernarg_segment_ptr 1
		.amdhsa_user_sgpr_dispatch_id 0
		.amdhsa_user_sgpr_flat_scratch_init 0
		.amdhsa_user_sgpr_kernarg_preload_length 0
		.amdhsa_user_sgpr_kernarg_preload_offset 0
		.amdhsa_user_sgpr_private_segment_size 0
		.amdhsa_uses_dynamic_stack 0
		.amdhsa_system_sgpr_private_segment_wavefront_offset 0
		.amdhsa_system_sgpr_workgroup_id_x 1
		.amdhsa_system_sgpr_workgroup_id_y 0
		.amdhsa_system_sgpr_workgroup_id_z 0
		.amdhsa_system_sgpr_workgroup_info 0
		.amdhsa_system_vgpr_workitem_id 0
		.amdhsa_next_free_vgpr 20
		.amdhsa_next_free_sgpr 10
		.amdhsa_accum_offset 20
		.amdhsa_reserve_vcc 0
		.amdhsa_reserve_flat_scratch 0
		.amdhsa_float_round_mode_32 0
		.amdhsa_float_round_mode_16_64 0
		.amdhsa_float_denorm_mode_32 3
		.amdhsa_float_denorm_mode_16_64 3
		.amdhsa_dx10_clamp 1
		.amdhsa_ieee_mode 1
		.amdhsa_fp16_overflow 0
		.amdhsa_tg_split 0
		.amdhsa_exception_fp_ieee_invalid_op 0
		.amdhsa_exception_fp_denorm_src 0
		.amdhsa_exception_fp_ieee_div_zero 0
		.amdhsa_exception_fp_ieee_overflow 0
		.amdhsa_exception_fp_ieee_underflow 0
		.amdhsa_exception_fp_ieee_inexact 0
		.amdhsa_exception_int_div_zero 0
	.end_amdhsa_kernel
	.section	.text._Z25scatter_to_striped_kernelIs5dummyIfELj896ELj7EEvPT_PT0_Pj,"axG",@progbits,_Z25scatter_to_striped_kernelIs5dummyIfELj896ELj7EEvPT_PT0_Pj,comdat
.Lfunc_end102:
	.size	_Z25scatter_to_striped_kernelIs5dummyIfELj896ELj7EEvPT_PT0_Pj, .Lfunc_end102-_Z25scatter_to_striped_kernelIs5dummyIfELj896ELj7EEvPT_PT0_Pj
                                        ; -- End function
	.section	.AMDGPU.csdata,"",@progbits
; Kernel info:
; codeLenInByte = 452
; NumSgprs: 14
; NumVgprs: 20
; NumAgprs: 0
; TotalNumVgprs: 20
; ScratchSize: 0
; MemoryBound: 0
; FloatMode: 240
; IeeeMode: 1
; LDSByteSize: 1792 bytes/workgroup (compile time only)
; SGPRBlocks: 1
; VGPRBlocks: 2
; NumSGPRsForWavesPerEU: 14
; NumVGPRsForWavesPerEU: 20
; AccumOffset: 20
; Occupancy: 8
; WaveLimiterHint : 0
; COMPUTE_PGM_RSRC2:SCRATCH_EN: 0
; COMPUTE_PGM_RSRC2:USER_SGPR: 6
; COMPUTE_PGM_RSRC2:TRAP_HANDLER: 0
; COMPUTE_PGM_RSRC2:TGID_X_EN: 1
; COMPUTE_PGM_RSRC2:TGID_Y_EN: 0
; COMPUTE_PGM_RSRC2:TGID_Z_EN: 0
; COMPUTE_PGM_RSRC2:TIDIG_COMP_CNT: 0
; COMPUTE_PGM_RSRC3_GFX90A:ACCUM_OFFSET: 4
; COMPUTE_PGM_RSRC3_GFX90A:TG_SPLIT: 0
	.section	.text._Z25scatter_to_striped_kernelIiiLj2560ELj5EEvPT_PT0_Pj,"axG",@progbits,_Z25scatter_to_striped_kernelIiiLj2560ELj5EEvPT_PT0_Pj,comdat
	.protected	_Z25scatter_to_striped_kernelIiiLj2560ELj5EEvPT_PT0_Pj ; -- Begin function _Z25scatter_to_striped_kernelIiiLj2560ELj5EEvPT_PT0_Pj
	.globl	_Z25scatter_to_striped_kernelIiiLj2560ELj5EEvPT_PT0_Pj
	.p2align	8
	.type	_Z25scatter_to_striped_kernelIiiLj2560ELj5EEvPT_PT0_Pj,@function
_Z25scatter_to_striped_kernelIiiLj2560ELj5EEvPT_PT0_Pj: ; @_Z25scatter_to_striped_kernelIiiLj2560ELj5EEvPT_PT0_Pj
; %bb.0:
	s_load_dwordx4 s[0:3], s[4:5], 0x0
	s_load_dwordx2 s[8:9], s[4:5], 0x10
	s_mul_i32 s4, s6, 0xa00
	s_mov_b32 s5, 0
	s_lshl_b64 s[4:5], s[4:5], 2
	s_waitcnt lgkmcnt(0)
	s_add_u32 s0, s0, s4
	s_addc_u32 s1, s1, s5
	v_mul_u32_u24_e32 v1, 5, v0
	s_add_u32 s6, s8, s4
	v_lshlrev_b32_e32 v10, 2, v1
	s_addc_u32 s7, s9, s5
	global_load_dwordx4 v[2:5], v10, s[6:7]
	global_load_dword v1, v10, s[6:7] offset:16
	global_load_dwordx4 v[6:9], v10, s[0:1]
	global_load_dword v11, v10, s[0:1] offset:16
	v_lshlrev_b32_e32 v12, 2, v0
	s_add_u32 s0, s2, s4
	s_addc_u32 s1, s3, s5
	s_waitcnt vmcnt(3)
	v_lshlrev_b32_e32 v0, 2, v2
	v_lshlrev_b32_e32 v2, 2, v3
	;; [unrolled: 1-line block ×4, first 2 shown]
	s_waitcnt vmcnt(2)
	v_lshlrev_b32_e32 v1, 2, v1
	s_waitcnt vmcnt(1)
	ds_write_b32 v0, v6
	ds_write_b32 v2, v7
	;; [unrolled: 1-line block ×4, first 2 shown]
	s_waitcnt vmcnt(0)
	ds_write_b32 v1, v11
	s_waitcnt lgkmcnt(0)
	s_barrier
	ds_read2st64_b32 v[0:1], v12 offset1:8
	ds_read2st64_b32 v[2:3], v12 offset0:16 offset1:24
	ds_read_b32 v4, v12 offset:8192
	s_waitcnt lgkmcnt(1)
	global_store_dwordx4 v10, v[0:3], s[0:1]
	s_waitcnt lgkmcnt(0)
	global_store_dword v10, v4, s[0:1] offset:16
	s_endpgm
	.section	.rodata,"a",@progbits
	.p2align	6, 0x0
	.amdhsa_kernel _Z25scatter_to_striped_kernelIiiLj2560ELj5EEvPT_PT0_Pj
		.amdhsa_group_segment_fixed_size 10240
		.amdhsa_private_segment_fixed_size 0
		.amdhsa_kernarg_size 24
		.amdhsa_user_sgpr_count 6
		.amdhsa_user_sgpr_private_segment_buffer 1
		.amdhsa_user_sgpr_dispatch_ptr 0
		.amdhsa_user_sgpr_queue_ptr 0
		.amdhsa_user_sgpr_kernarg_segment_ptr 1
		.amdhsa_user_sgpr_dispatch_id 0
		.amdhsa_user_sgpr_flat_scratch_init 0
		.amdhsa_user_sgpr_kernarg_preload_length 0
		.amdhsa_user_sgpr_kernarg_preload_offset 0
		.amdhsa_user_sgpr_private_segment_size 0
		.amdhsa_uses_dynamic_stack 0
		.amdhsa_system_sgpr_private_segment_wavefront_offset 0
		.amdhsa_system_sgpr_workgroup_id_x 1
		.amdhsa_system_sgpr_workgroup_id_y 0
		.amdhsa_system_sgpr_workgroup_id_z 0
		.amdhsa_system_sgpr_workgroup_info 0
		.amdhsa_system_vgpr_workitem_id 0
		.amdhsa_next_free_vgpr 13
		.amdhsa_next_free_sgpr 10
		.amdhsa_accum_offset 16
		.amdhsa_reserve_vcc 0
		.amdhsa_reserve_flat_scratch 0
		.amdhsa_float_round_mode_32 0
		.amdhsa_float_round_mode_16_64 0
		.amdhsa_float_denorm_mode_32 3
		.amdhsa_float_denorm_mode_16_64 3
		.amdhsa_dx10_clamp 1
		.amdhsa_ieee_mode 1
		.amdhsa_fp16_overflow 0
		.amdhsa_tg_split 0
		.amdhsa_exception_fp_ieee_invalid_op 0
		.amdhsa_exception_fp_denorm_src 0
		.amdhsa_exception_fp_ieee_div_zero 0
		.amdhsa_exception_fp_ieee_overflow 0
		.amdhsa_exception_fp_ieee_underflow 0
		.amdhsa_exception_fp_ieee_inexact 0
		.amdhsa_exception_int_div_zero 0
	.end_amdhsa_kernel
	.section	.text._Z25scatter_to_striped_kernelIiiLj2560ELj5EEvPT_PT0_Pj,"axG",@progbits,_Z25scatter_to_striped_kernelIiiLj2560ELj5EEvPT_PT0_Pj,comdat
.Lfunc_end103:
	.size	_Z25scatter_to_striped_kernelIiiLj2560ELj5EEvPT_PT0_Pj, .Lfunc_end103-_Z25scatter_to_striped_kernelIiiLj2560ELj5EEvPT_PT0_Pj
                                        ; -- End function
	.section	.AMDGPU.csdata,"",@progbits
; Kernel info:
; codeLenInByte = 240
; NumSgprs: 14
; NumVgprs: 13
; NumAgprs: 0
; TotalNumVgprs: 13
; ScratchSize: 0
; MemoryBound: 0
; FloatMode: 240
; IeeeMode: 1
; LDSByteSize: 10240 bytes/workgroup (compile time only)
; SGPRBlocks: 1
; VGPRBlocks: 1
; NumSGPRsForWavesPerEU: 14
; NumVGPRsForWavesPerEU: 13
; AccumOffset: 16
; Occupancy: 8
; WaveLimiterHint : 0
; COMPUTE_PGM_RSRC2:SCRATCH_EN: 0
; COMPUTE_PGM_RSRC2:USER_SGPR: 6
; COMPUTE_PGM_RSRC2:TRAP_HANDLER: 0
; COMPUTE_PGM_RSRC2:TGID_X_EN: 1
; COMPUTE_PGM_RSRC2:TGID_Y_EN: 0
; COMPUTE_PGM_RSRC2:TGID_Z_EN: 0
; COMPUTE_PGM_RSRC2:TIDIG_COMP_CNT: 0
; COMPUTE_PGM_RSRC3_GFX90A:ACCUM_OFFSET: 3
; COMPUTE_PGM_RSRC3_GFX90A:TG_SPLIT: 0
	.section	.text._Z25scatter_to_striped_kernelIxxLj1024ELj4EEvPT_PT0_Pj,"axG",@progbits,_Z25scatter_to_striped_kernelIxxLj1024ELj4EEvPT_PT0_Pj,comdat
	.protected	_Z25scatter_to_striped_kernelIxxLj1024ELj4EEvPT_PT0_Pj ; -- Begin function _Z25scatter_to_striped_kernelIxxLj1024ELj4EEvPT_PT0_Pj
	.globl	_Z25scatter_to_striped_kernelIxxLj1024ELj4EEvPT_PT0_Pj
	.p2align	8
	.type	_Z25scatter_to_striped_kernelIxxLj1024ELj4EEvPT_PT0_Pj,@function
_Z25scatter_to_striped_kernelIxxLj1024ELj4EEvPT_PT0_Pj: ; @_Z25scatter_to_striped_kernelIxxLj1024ELj4EEvPT_PT0_Pj
; %bb.0:
	s_load_dwordx4 s[0:3], s[4:5], 0x0
	s_load_dwordx2 s[8:9], s[4:5], 0x10
	s_lshl_b32 s4, s6, 10
	s_mov_b32 s5, 0
	s_lshl_b64 s[6:7], s[4:5], 3
	s_waitcnt lgkmcnt(0)
	s_add_u32 s0, s0, s6
	s_addc_u32 s1, s1, s7
	s_lshl_b64 s[4:5], s[4:5], 2
	s_add_u32 s4, s8, s4
	s_addc_u32 s5, s9, s5
	v_lshlrev_b32_e32 v1, 4, v0
	global_load_dwordx4 v[2:5], v1, s[4:5]
	v_lshlrev_b32_e32 v14, 5, v0
	global_load_dwordx4 v[6:9], v14, s[0:1]
	global_load_dwordx4 v[10:13], v14, s[0:1] offset:16
	v_lshlrev_b32_e32 v15, 3, v0
	s_add_u32 s0, s2, s6
	s_addc_u32 s1, s3, s7
	s_waitcnt vmcnt(2)
	v_lshlrev_b32_e32 v0, 3, v2
	v_lshlrev_b32_e32 v1, 3, v3
	;; [unrolled: 1-line block ×4, first 2 shown]
	s_waitcnt vmcnt(1)
	ds_write_b64 v0, v[6:7]
	ds_write_b64 v1, v[8:9]
	s_waitcnt vmcnt(0)
	ds_write_b64 v2, v[10:11]
	ds_write_b64 v3, v[12:13]
	s_waitcnt lgkmcnt(0)
	s_barrier
	ds_read2st64_b64 v[0:3], v15 offset1:4
	ds_read2st64_b64 v[4:7], v15 offset0:8 offset1:12
	s_waitcnt lgkmcnt(1)
	global_store_dwordx4 v14, v[0:3], s[0:1]
	s_waitcnt lgkmcnt(0)
	global_store_dwordx4 v14, v[4:7], s[0:1] offset:16
	s_endpgm
	.section	.rodata,"a",@progbits
	.p2align	6, 0x0
	.amdhsa_kernel _Z25scatter_to_striped_kernelIxxLj1024ELj4EEvPT_PT0_Pj
		.amdhsa_group_segment_fixed_size 8448
		.amdhsa_private_segment_fixed_size 0
		.amdhsa_kernarg_size 24
		.amdhsa_user_sgpr_count 6
		.amdhsa_user_sgpr_private_segment_buffer 1
		.amdhsa_user_sgpr_dispatch_ptr 0
		.amdhsa_user_sgpr_queue_ptr 0
		.amdhsa_user_sgpr_kernarg_segment_ptr 1
		.amdhsa_user_sgpr_dispatch_id 0
		.amdhsa_user_sgpr_flat_scratch_init 0
		.amdhsa_user_sgpr_kernarg_preload_length 0
		.amdhsa_user_sgpr_kernarg_preload_offset 0
		.amdhsa_user_sgpr_private_segment_size 0
		.amdhsa_uses_dynamic_stack 0
		.amdhsa_system_sgpr_private_segment_wavefront_offset 0
		.amdhsa_system_sgpr_workgroup_id_x 1
		.amdhsa_system_sgpr_workgroup_id_y 0
		.amdhsa_system_sgpr_workgroup_id_z 0
		.amdhsa_system_sgpr_workgroup_info 0
		.amdhsa_system_vgpr_workitem_id 0
		.amdhsa_next_free_vgpr 16
		.amdhsa_next_free_sgpr 10
		.amdhsa_accum_offset 16
		.amdhsa_reserve_vcc 0
		.amdhsa_reserve_flat_scratch 0
		.amdhsa_float_round_mode_32 0
		.amdhsa_float_round_mode_16_64 0
		.amdhsa_float_denorm_mode_32 3
		.amdhsa_float_denorm_mode_16_64 3
		.amdhsa_dx10_clamp 1
		.amdhsa_ieee_mode 1
		.amdhsa_fp16_overflow 0
		.amdhsa_tg_split 0
		.amdhsa_exception_fp_ieee_invalid_op 0
		.amdhsa_exception_fp_denorm_src 0
		.amdhsa_exception_fp_ieee_div_zero 0
		.amdhsa_exception_fp_ieee_overflow 0
		.amdhsa_exception_fp_ieee_underflow 0
		.amdhsa_exception_fp_ieee_inexact 0
		.amdhsa_exception_int_div_zero 0
	.end_amdhsa_kernel
	.section	.text._Z25scatter_to_striped_kernelIxxLj1024ELj4EEvPT_PT0_Pj,"axG",@progbits,_Z25scatter_to_striped_kernelIxxLj1024ELj4EEvPT_PT0_Pj,comdat
.Lfunc_end104:
	.size	_Z25scatter_to_striped_kernelIxxLj1024ELj4EEvPT_PT0_Pj, .Lfunc_end104-_Z25scatter_to_striped_kernelIxxLj1024ELj4EEvPT_PT0_Pj
                                        ; -- End function
	.section	.AMDGPU.csdata,"",@progbits
; Kernel info:
; codeLenInByte = 208
; NumSgprs: 14
; NumVgprs: 16
; NumAgprs: 0
; TotalNumVgprs: 16
; ScratchSize: 0
; MemoryBound: 1
; FloatMode: 240
; IeeeMode: 1
; LDSByteSize: 8448 bytes/workgroup (compile time only)
; SGPRBlocks: 1
; VGPRBlocks: 1
; NumSGPRsForWavesPerEU: 14
; NumVGPRsForWavesPerEU: 16
; AccumOffset: 16
; Occupancy: 8
; WaveLimiterHint : 1
; COMPUTE_PGM_RSRC2:SCRATCH_EN: 0
; COMPUTE_PGM_RSRC2:USER_SGPR: 6
; COMPUTE_PGM_RSRC2:TRAP_HANDLER: 0
; COMPUTE_PGM_RSRC2:TGID_X_EN: 1
; COMPUTE_PGM_RSRC2:TGID_Y_EN: 0
; COMPUTE_PGM_RSRC2:TGID_Z_EN: 0
; COMPUTE_PGM_RSRC2:TIDIG_COMP_CNT: 0
; COMPUTE_PGM_RSRC3_GFX90A:ACCUM_OFFSET: 3
; COMPUTE_PGM_RSRC3_GFX90A:TG_SPLIT: 0
	.section	.text._Z25scatter_to_striped_kernelIiiLj128ELj2EEvPT_PT0_Pj,"axG",@progbits,_Z25scatter_to_striped_kernelIiiLj128ELj2EEvPT_PT0_Pj,comdat
	.protected	_Z25scatter_to_striped_kernelIiiLj128ELj2EEvPT_PT0_Pj ; -- Begin function _Z25scatter_to_striped_kernelIiiLj128ELj2EEvPT_PT0_Pj
	.globl	_Z25scatter_to_striped_kernelIiiLj128ELj2EEvPT_PT0_Pj
	.p2align	8
	.type	_Z25scatter_to_striped_kernelIiiLj128ELj2EEvPT_PT0_Pj,@function
_Z25scatter_to_striped_kernelIiiLj128ELj2EEvPT_PT0_Pj: ; @_Z25scatter_to_striped_kernelIiiLj128ELj2EEvPT_PT0_Pj
; %bb.0:
	s_load_dwordx4 s[0:3], s[4:5], 0x0
	s_load_dwordx2 s[8:9], s[4:5], 0x10
	s_lshl_b32 s4, s6, 7
	s_mov_b32 s5, 0
	s_lshl_b64 s[4:5], s[4:5], 2
	s_waitcnt lgkmcnt(0)
	s_add_u32 s0, s0, s4
	s_addc_u32 s1, s1, s5
	s_add_u32 s6, s8, s4
	v_lshlrev_b32_e32 v6, 3, v0
	s_addc_u32 s7, s9, s5
	global_load_dwordx2 v[2:3], v6, s[6:7]
	global_load_dwordx2 v[4:5], v6, s[0:1]
	v_lshlrev_b32_e32 v0, 2, v0
	s_add_u32 s0, s2, s4
	s_addc_u32 s1, s3, s5
	s_waitcnt vmcnt(1)
	v_lshlrev_b32_e32 v1, 2, v2
	v_lshlrev_b32_e32 v2, 2, v3
	s_waitcnt vmcnt(0)
	ds_write_b32 v1, v4
	ds_write_b32 v2, v5
	s_waitcnt lgkmcnt(0)
	s_barrier
	ds_read2st64_b32 v[0:1], v0 offset1:1
	s_waitcnt lgkmcnt(0)
	global_store_dwordx2 v6, v[0:1], s[0:1]
	s_endpgm
	.section	.rodata,"a",@progbits
	.p2align	6, 0x0
	.amdhsa_kernel _Z25scatter_to_striped_kernelIiiLj128ELj2EEvPT_PT0_Pj
		.amdhsa_group_segment_fixed_size 528
		.amdhsa_private_segment_fixed_size 0
		.amdhsa_kernarg_size 24
		.amdhsa_user_sgpr_count 6
		.amdhsa_user_sgpr_private_segment_buffer 1
		.amdhsa_user_sgpr_dispatch_ptr 0
		.amdhsa_user_sgpr_queue_ptr 0
		.amdhsa_user_sgpr_kernarg_segment_ptr 1
		.amdhsa_user_sgpr_dispatch_id 0
		.amdhsa_user_sgpr_flat_scratch_init 0
		.amdhsa_user_sgpr_kernarg_preload_length 0
		.amdhsa_user_sgpr_kernarg_preload_offset 0
		.amdhsa_user_sgpr_private_segment_size 0
		.amdhsa_uses_dynamic_stack 0
		.amdhsa_system_sgpr_private_segment_wavefront_offset 0
		.amdhsa_system_sgpr_workgroup_id_x 1
		.amdhsa_system_sgpr_workgroup_id_y 0
		.amdhsa_system_sgpr_workgroup_id_z 0
		.amdhsa_system_sgpr_workgroup_info 0
		.amdhsa_system_vgpr_workitem_id 0
		.amdhsa_next_free_vgpr 7
		.amdhsa_next_free_sgpr 10
		.amdhsa_accum_offset 8
		.amdhsa_reserve_vcc 0
		.amdhsa_reserve_flat_scratch 0
		.amdhsa_float_round_mode_32 0
		.amdhsa_float_round_mode_16_64 0
		.amdhsa_float_denorm_mode_32 3
		.amdhsa_float_denorm_mode_16_64 3
		.amdhsa_dx10_clamp 1
		.amdhsa_ieee_mode 1
		.amdhsa_fp16_overflow 0
		.amdhsa_tg_split 0
		.amdhsa_exception_fp_ieee_invalid_op 0
		.amdhsa_exception_fp_denorm_src 0
		.amdhsa_exception_fp_ieee_div_zero 0
		.amdhsa_exception_fp_ieee_overflow 0
		.amdhsa_exception_fp_ieee_underflow 0
		.amdhsa_exception_fp_ieee_inexact 0
		.amdhsa_exception_int_div_zero 0
	.end_amdhsa_kernel
	.section	.text._Z25scatter_to_striped_kernelIiiLj128ELj2EEvPT_PT0_Pj,"axG",@progbits,_Z25scatter_to_striped_kernelIiiLj128ELj2EEvPT_PT0_Pj,comdat
.Lfunc_end105:
	.size	_Z25scatter_to_striped_kernelIiiLj128ELj2EEvPT_PT0_Pj, .Lfunc_end105-_Z25scatter_to_striped_kernelIiiLj128ELj2EEvPT_PT0_Pj
                                        ; -- End function
	.section	.AMDGPU.csdata,"",@progbits
; Kernel info:
; codeLenInByte = 144
; NumSgprs: 14
; NumVgprs: 7
; NumAgprs: 0
; TotalNumVgprs: 7
; ScratchSize: 0
; MemoryBound: 0
; FloatMode: 240
; IeeeMode: 1
; LDSByteSize: 528 bytes/workgroup (compile time only)
; SGPRBlocks: 1
; VGPRBlocks: 0
; NumSGPRsForWavesPerEU: 14
; NumVGPRsForWavesPerEU: 7
; AccumOffset: 8
; Occupancy: 8
; WaveLimiterHint : 0
; COMPUTE_PGM_RSRC2:SCRATCH_EN: 0
; COMPUTE_PGM_RSRC2:USER_SGPR: 6
; COMPUTE_PGM_RSRC2:TRAP_HANDLER: 0
; COMPUTE_PGM_RSRC2:TGID_X_EN: 1
; COMPUTE_PGM_RSRC2:TGID_Y_EN: 0
; COMPUTE_PGM_RSRC2:TGID_Z_EN: 0
; COMPUTE_PGM_RSRC2:TIDIG_COMP_CNT: 0
; COMPUTE_PGM_RSRC3_GFX90A:ACCUM_OFFSET: 1
; COMPUTE_PGM_RSRC3_GFX90A:TG_SPLIT: 0
	.section	.text._Z25scatter_to_striped_kernelIxxLj512ELj1EEvPT_PT0_Pj,"axG",@progbits,_Z25scatter_to_striped_kernelIxxLj512ELj1EEvPT_PT0_Pj,comdat
	.protected	_Z25scatter_to_striped_kernelIxxLj512ELj1EEvPT_PT0_Pj ; -- Begin function _Z25scatter_to_striped_kernelIxxLj512ELj1EEvPT_PT0_Pj
	.globl	_Z25scatter_to_striped_kernelIxxLj512ELj1EEvPT_PT0_Pj
	.p2align	8
	.type	_Z25scatter_to_striped_kernelIxxLj512ELj1EEvPT_PT0_Pj,@function
_Z25scatter_to_striped_kernelIxxLj512ELj1EEvPT_PT0_Pj: ; @_Z25scatter_to_striped_kernelIxxLj512ELj1EEvPT_PT0_Pj
; %bb.0:
	s_load_dwordx4 s[0:3], s[4:5], 0x0
	s_load_dwordx2 s[8:9], s[4:5], 0x10
	s_lshl_b32 s4, s6, 9
	s_mov_b32 s5, 0
	s_lshl_b64 s[6:7], s[4:5], 3
	s_waitcnt lgkmcnt(0)
	s_add_u32 s0, s0, s6
	s_addc_u32 s1, s1, s7
	s_lshl_b64 s[4:5], s[4:5], 2
	s_add_u32 s4, s8, s4
	s_addc_u32 s5, s9, s5
	v_lshlrev_b32_e32 v3, 2, v0
	v_lshlrev_b32_e32 v2, 3, v0
	global_load_dword v4, v3, s[4:5]
	global_load_dwordx2 v[0:1], v2, s[0:1]
	s_add_u32 s0, s2, s6
	s_addc_u32 s1, s3, s7
	s_waitcnt vmcnt(1)
	v_lshlrev_b32_e32 v3, 3, v4
	s_waitcnt vmcnt(0)
	ds_write_b64 v3, v[0:1]
	s_waitcnt lgkmcnt(0)
	s_barrier
	ds_read_b64 v[0:1], v2
	s_waitcnt lgkmcnt(0)
	global_store_dwordx2 v2, v[0:1], s[0:1]
	s_endpgm
	.section	.rodata,"a",@progbits
	.p2align	6, 0x0
	.amdhsa_kernel _Z25scatter_to_striped_kernelIxxLj512ELj1EEvPT_PT0_Pj
		.amdhsa_group_segment_fixed_size 4096
		.amdhsa_private_segment_fixed_size 0
		.amdhsa_kernarg_size 24
		.amdhsa_user_sgpr_count 6
		.amdhsa_user_sgpr_private_segment_buffer 1
		.amdhsa_user_sgpr_dispatch_ptr 0
		.amdhsa_user_sgpr_queue_ptr 0
		.amdhsa_user_sgpr_kernarg_segment_ptr 1
		.amdhsa_user_sgpr_dispatch_id 0
		.amdhsa_user_sgpr_flat_scratch_init 0
		.amdhsa_user_sgpr_kernarg_preload_length 0
		.amdhsa_user_sgpr_kernarg_preload_offset 0
		.amdhsa_user_sgpr_private_segment_size 0
		.amdhsa_uses_dynamic_stack 0
		.amdhsa_system_sgpr_private_segment_wavefront_offset 0
		.amdhsa_system_sgpr_workgroup_id_x 1
		.amdhsa_system_sgpr_workgroup_id_y 0
		.amdhsa_system_sgpr_workgroup_id_z 0
		.amdhsa_system_sgpr_workgroup_info 0
		.amdhsa_system_vgpr_workitem_id 0
		.amdhsa_next_free_vgpr 5
		.amdhsa_next_free_sgpr 10
		.amdhsa_accum_offset 8
		.amdhsa_reserve_vcc 0
		.amdhsa_reserve_flat_scratch 0
		.amdhsa_float_round_mode_32 0
		.amdhsa_float_round_mode_16_64 0
		.amdhsa_float_denorm_mode_32 3
		.amdhsa_float_denorm_mode_16_64 3
		.amdhsa_dx10_clamp 1
		.amdhsa_ieee_mode 1
		.amdhsa_fp16_overflow 0
		.amdhsa_tg_split 0
		.amdhsa_exception_fp_ieee_invalid_op 0
		.amdhsa_exception_fp_denorm_src 0
		.amdhsa_exception_fp_ieee_div_zero 0
		.amdhsa_exception_fp_ieee_overflow 0
		.amdhsa_exception_fp_ieee_underflow 0
		.amdhsa_exception_fp_ieee_inexact 0
		.amdhsa_exception_int_div_zero 0
	.end_amdhsa_kernel
	.section	.text._Z25scatter_to_striped_kernelIxxLj512ELj1EEvPT_PT0_Pj,"axG",@progbits,_Z25scatter_to_striped_kernelIxxLj512ELj1EEvPT_PT0_Pj,comdat
.Lfunc_end106:
	.size	_Z25scatter_to_striped_kernelIxxLj512ELj1EEvPT_PT0_Pj, .Lfunc_end106-_Z25scatter_to_striped_kernelIxxLj512ELj1EEvPT_PT0_Pj
                                        ; -- End function
	.section	.AMDGPU.csdata,"",@progbits
; Kernel info:
; codeLenInByte = 136
; NumSgprs: 14
; NumVgprs: 5
; NumAgprs: 0
; TotalNumVgprs: 5
; ScratchSize: 0
; MemoryBound: 0
; FloatMode: 240
; IeeeMode: 1
; LDSByteSize: 4096 bytes/workgroup (compile time only)
; SGPRBlocks: 1
; VGPRBlocks: 0
; NumSGPRsForWavesPerEU: 14
; NumVGPRsForWavesPerEU: 5
; AccumOffset: 8
; Occupancy: 8
; WaveLimiterHint : 0
; COMPUTE_PGM_RSRC2:SCRATCH_EN: 0
; COMPUTE_PGM_RSRC2:USER_SGPR: 6
; COMPUTE_PGM_RSRC2:TRAP_HANDLER: 0
; COMPUTE_PGM_RSRC2:TGID_X_EN: 1
; COMPUTE_PGM_RSRC2:TGID_Y_EN: 0
; COMPUTE_PGM_RSRC2:TGID_Z_EN: 0
; COMPUTE_PGM_RSRC2:TIDIG_COMP_CNT: 0
; COMPUTE_PGM_RSRC3_GFX90A:ACCUM_OFFSET: 1
; COMPUTE_PGM_RSRC3_GFX90A:TG_SPLIT: 0
	.section	.text._Z25scatter_to_striped_kernelIs5dummyIiELj256ELj1EEvPT_PT0_Pj,"axG",@progbits,_Z25scatter_to_striped_kernelIs5dummyIiELj256ELj1EEvPT_PT0_Pj,comdat
	.protected	_Z25scatter_to_striped_kernelIs5dummyIiELj256ELj1EEvPT_PT0_Pj ; -- Begin function _Z25scatter_to_striped_kernelIs5dummyIiELj256ELj1EEvPT_PT0_Pj
	.globl	_Z25scatter_to_striped_kernelIs5dummyIiELj256ELj1EEvPT_PT0_Pj
	.p2align	8
	.type	_Z25scatter_to_striped_kernelIs5dummyIiELj256ELj1EEvPT_PT0_Pj,@function
_Z25scatter_to_striped_kernelIs5dummyIiELj256ELj1EEvPT_PT0_Pj: ; @_Z25scatter_to_striped_kernelIs5dummyIiELj256ELj1EEvPT_PT0_Pj
; %bb.0:
	s_load_dwordx4 s[0:3], s[4:5], 0x0
	s_load_dwordx2 s[8:9], s[4:5], 0x10
	s_lshl_b32 s4, s6, 8
	s_mov_b32 s5, 0
	s_lshl_b64 s[6:7], s[4:5], 1
	s_waitcnt lgkmcnt(0)
	s_add_u32 s0, s0, s6
	s_addc_u32 s1, s1, s7
	s_lshl_b64 s[6:7], s[4:5], 2
	s_add_u32 s6, s8, s6
	s_addc_u32 s7, s9, s7
	v_lshlrev_b32_e32 v2, 2, v0
	v_lshlrev_b32_e32 v1, 1, v0
	global_load_dword v3, v2, s[6:7]
	global_load_ushort v4, v1, s[0:1]
	s_lshl_b64 s[0:1], s[4:5], 3
	s_add_u32 s0, s2, s0
	s_addc_u32 s1, s3, s1
	v_lshlrev_b32_e32 v0, 3, v0
	s_waitcnt vmcnt(1)
	v_lshlrev_b32_e32 v2, 1, v3
	s_waitcnt vmcnt(0)
	ds_write_b16 v2, v4
	s_waitcnt lgkmcnt(0)
	s_barrier
	ds_read_i16 v1, v1
	s_waitcnt lgkmcnt(0)
	v_lshlrev_b32_e32 v3, 1, v1
	v_add_u32_e32 v2, 1, v1
	global_store_dwordx2 v0, v[2:3], s[0:1]
	s_endpgm
	.section	.rodata,"a",@progbits
	.p2align	6, 0x0
	.amdhsa_kernel _Z25scatter_to_striped_kernelIs5dummyIiELj256ELj1EEvPT_PT0_Pj
		.amdhsa_group_segment_fixed_size 512
		.amdhsa_private_segment_fixed_size 0
		.amdhsa_kernarg_size 24
		.amdhsa_user_sgpr_count 6
		.amdhsa_user_sgpr_private_segment_buffer 1
		.amdhsa_user_sgpr_dispatch_ptr 0
		.amdhsa_user_sgpr_queue_ptr 0
		.amdhsa_user_sgpr_kernarg_segment_ptr 1
		.amdhsa_user_sgpr_dispatch_id 0
		.amdhsa_user_sgpr_flat_scratch_init 0
		.amdhsa_user_sgpr_kernarg_preload_length 0
		.amdhsa_user_sgpr_kernarg_preload_offset 0
		.amdhsa_user_sgpr_private_segment_size 0
		.amdhsa_uses_dynamic_stack 0
		.amdhsa_system_sgpr_private_segment_wavefront_offset 0
		.amdhsa_system_sgpr_workgroup_id_x 1
		.amdhsa_system_sgpr_workgroup_id_y 0
		.amdhsa_system_sgpr_workgroup_id_z 0
		.amdhsa_system_sgpr_workgroup_info 0
		.amdhsa_system_vgpr_workitem_id 0
		.amdhsa_next_free_vgpr 5
		.amdhsa_next_free_sgpr 10
		.amdhsa_accum_offset 8
		.amdhsa_reserve_vcc 0
		.amdhsa_reserve_flat_scratch 0
		.amdhsa_float_round_mode_32 0
		.amdhsa_float_round_mode_16_64 0
		.amdhsa_float_denorm_mode_32 3
		.amdhsa_float_denorm_mode_16_64 3
		.amdhsa_dx10_clamp 1
		.amdhsa_ieee_mode 1
		.amdhsa_fp16_overflow 0
		.amdhsa_tg_split 0
		.amdhsa_exception_fp_ieee_invalid_op 0
		.amdhsa_exception_fp_denorm_src 0
		.amdhsa_exception_fp_ieee_div_zero 0
		.amdhsa_exception_fp_ieee_overflow 0
		.amdhsa_exception_fp_ieee_underflow 0
		.amdhsa_exception_fp_ieee_inexact 0
		.amdhsa_exception_int_div_zero 0
	.end_amdhsa_kernel
	.section	.text._Z25scatter_to_striped_kernelIs5dummyIiELj256ELj1EEvPT_PT0_Pj,"axG",@progbits,_Z25scatter_to_striped_kernelIs5dummyIiELj256ELj1EEvPT_PT0_Pj,comdat
.Lfunc_end107:
	.size	_Z25scatter_to_striped_kernelIs5dummyIiELj256ELj1EEvPT_PT0_Pj, .Lfunc_end107-_Z25scatter_to_striped_kernelIs5dummyIiELj256ELj1EEvPT_PT0_Pj
                                        ; -- End function
	.section	.AMDGPU.csdata,"",@progbits
; Kernel info:
; codeLenInByte = 152
; NumSgprs: 14
; NumVgprs: 5
; NumAgprs: 0
; TotalNumVgprs: 5
; ScratchSize: 0
; MemoryBound: 0
; FloatMode: 240
; IeeeMode: 1
; LDSByteSize: 512 bytes/workgroup (compile time only)
; SGPRBlocks: 1
; VGPRBlocks: 0
; NumSGPRsForWavesPerEU: 14
; NumVGPRsForWavesPerEU: 5
; AccumOffset: 8
; Occupancy: 8
; WaveLimiterHint : 0
; COMPUTE_PGM_RSRC2:SCRATCH_EN: 0
; COMPUTE_PGM_RSRC2:USER_SGPR: 6
; COMPUTE_PGM_RSRC2:TRAP_HANDLER: 0
; COMPUTE_PGM_RSRC2:TGID_X_EN: 1
; COMPUTE_PGM_RSRC2:TGID_Y_EN: 0
; COMPUTE_PGM_RSRC2:TGID_Z_EN: 0
; COMPUTE_PGM_RSRC2:TIDIG_COMP_CNT: 0
; COMPUTE_PGM_RSRC3_GFX90A:ACCUM_OFFSET: 1
; COMPUTE_PGM_RSRC3_GFX90A:TG_SPLIT: 0
	.section	.text._Z25scatter_to_striped_kernelIyyLj128ELj1EEvPT_PT0_Pj,"axG",@progbits,_Z25scatter_to_striped_kernelIyyLj128ELj1EEvPT_PT0_Pj,comdat
	.protected	_Z25scatter_to_striped_kernelIyyLj128ELj1EEvPT_PT0_Pj ; -- Begin function _Z25scatter_to_striped_kernelIyyLj128ELj1EEvPT_PT0_Pj
	.globl	_Z25scatter_to_striped_kernelIyyLj128ELj1EEvPT_PT0_Pj
	.p2align	8
	.type	_Z25scatter_to_striped_kernelIyyLj128ELj1EEvPT_PT0_Pj,@function
_Z25scatter_to_striped_kernelIyyLj128ELj1EEvPT_PT0_Pj: ; @_Z25scatter_to_striped_kernelIyyLj128ELj1EEvPT_PT0_Pj
; %bb.0:
	s_load_dwordx4 s[0:3], s[4:5], 0x0
	s_load_dwordx2 s[8:9], s[4:5], 0x10
	s_lshl_b32 s4, s6, 7
	s_mov_b32 s5, 0
	s_lshl_b64 s[6:7], s[4:5], 3
	s_waitcnt lgkmcnt(0)
	s_add_u32 s0, s0, s6
	s_addc_u32 s1, s1, s7
	s_lshl_b64 s[4:5], s[4:5], 2
	s_add_u32 s4, s8, s4
	s_addc_u32 s5, s9, s5
	v_lshlrev_b32_e32 v3, 2, v0
	v_lshlrev_b32_e32 v2, 3, v0
	global_load_dword v4, v3, s[4:5]
	global_load_dwordx2 v[0:1], v2, s[0:1]
	s_add_u32 s0, s2, s6
	s_addc_u32 s1, s3, s7
	s_waitcnt vmcnt(1)
	v_lshlrev_b32_e32 v3, 3, v4
	s_waitcnt vmcnt(0)
	ds_write_b64 v3, v[0:1]
	s_waitcnt lgkmcnt(0)
	s_barrier
	ds_read_b64 v[0:1], v2
	s_waitcnt lgkmcnt(0)
	global_store_dwordx2 v2, v[0:1], s[0:1]
	s_endpgm
	.section	.rodata,"a",@progbits
	.p2align	6, 0x0
	.amdhsa_kernel _Z25scatter_to_striped_kernelIyyLj128ELj1EEvPT_PT0_Pj
		.amdhsa_group_segment_fixed_size 1024
		.amdhsa_private_segment_fixed_size 0
		.amdhsa_kernarg_size 24
		.amdhsa_user_sgpr_count 6
		.amdhsa_user_sgpr_private_segment_buffer 1
		.amdhsa_user_sgpr_dispatch_ptr 0
		.amdhsa_user_sgpr_queue_ptr 0
		.amdhsa_user_sgpr_kernarg_segment_ptr 1
		.amdhsa_user_sgpr_dispatch_id 0
		.amdhsa_user_sgpr_flat_scratch_init 0
		.amdhsa_user_sgpr_kernarg_preload_length 0
		.amdhsa_user_sgpr_kernarg_preload_offset 0
		.amdhsa_user_sgpr_private_segment_size 0
		.amdhsa_uses_dynamic_stack 0
		.amdhsa_system_sgpr_private_segment_wavefront_offset 0
		.amdhsa_system_sgpr_workgroup_id_x 1
		.amdhsa_system_sgpr_workgroup_id_y 0
		.amdhsa_system_sgpr_workgroup_id_z 0
		.amdhsa_system_sgpr_workgroup_info 0
		.amdhsa_system_vgpr_workitem_id 0
		.amdhsa_next_free_vgpr 5
		.amdhsa_next_free_sgpr 10
		.amdhsa_accum_offset 8
		.amdhsa_reserve_vcc 0
		.amdhsa_reserve_flat_scratch 0
		.amdhsa_float_round_mode_32 0
		.amdhsa_float_round_mode_16_64 0
		.amdhsa_float_denorm_mode_32 3
		.amdhsa_float_denorm_mode_16_64 3
		.amdhsa_dx10_clamp 1
		.amdhsa_ieee_mode 1
		.amdhsa_fp16_overflow 0
		.amdhsa_tg_split 0
		.amdhsa_exception_fp_ieee_invalid_op 0
		.amdhsa_exception_fp_denorm_src 0
		.amdhsa_exception_fp_ieee_div_zero 0
		.amdhsa_exception_fp_ieee_overflow 0
		.amdhsa_exception_fp_ieee_underflow 0
		.amdhsa_exception_fp_ieee_inexact 0
		.amdhsa_exception_int_div_zero 0
	.end_amdhsa_kernel
	.section	.text._Z25scatter_to_striped_kernelIyyLj128ELj1EEvPT_PT0_Pj,"axG",@progbits,_Z25scatter_to_striped_kernelIyyLj128ELj1EEvPT_PT0_Pj,comdat
.Lfunc_end108:
	.size	_Z25scatter_to_striped_kernelIyyLj128ELj1EEvPT_PT0_Pj, .Lfunc_end108-_Z25scatter_to_striped_kernelIyyLj128ELj1EEvPT_PT0_Pj
                                        ; -- End function
	.section	.AMDGPU.csdata,"",@progbits
; Kernel info:
; codeLenInByte = 136
; NumSgprs: 14
; NumVgprs: 5
; NumAgprs: 0
; TotalNumVgprs: 5
; ScratchSize: 0
; MemoryBound: 0
; FloatMode: 240
; IeeeMode: 1
; LDSByteSize: 1024 bytes/workgroup (compile time only)
; SGPRBlocks: 1
; VGPRBlocks: 0
; NumSGPRsForWavesPerEU: 14
; NumVGPRsForWavesPerEU: 5
; AccumOffset: 8
; Occupancy: 8
; WaveLimiterHint : 0
; COMPUTE_PGM_RSRC2:SCRATCH_EN: 0
; COMPUTE_PGM_RSRC2:USER_SGPR: 6
; COMPUTE_PGM_RSRC2:TRAP_HANDLER: 0
; COMPUTE_PGM_RSRC2:TGID_X_EN: 1
; COMPUTE_PGM_RSRC2:TGID_Y_EN: 0
; COMPUTE_PGM_RSRC2:TGID_Z_EN: 0
; COMPUTE_PGM_RSRC2:TIDIG_COMP_CNT: 0
; COMPUTE_PGM_RSRC3_GFX90A:ACCUM_OFFSET: 1
; COMPUTE_PGM_RSRC3_GFX90A:TG_SPLIT: 0
	.section	.text._Z25scatter_to_striped_kernelIixLj64ELj1EEvPT_PT0_Pj,"axG",@progbits,_Z25scatter_to_striped_kernelIixLj64ELj1EEvPT_PT0_Pj,comdat
	.protected	_Z25scatter_to_striped_kernelIixLj64ELj1EEvPT_PT0_Pj ; -- Begin function _Z25scatter_to_striped_kernelIixLj64ELj1EEvPT_PT0_Pj
	.globl	_Z25scatter_to_striped_kernelIixLj64ELj1EEvPT_PT0_Pj
	.p2align	8
	.type	_Z25scatter_to_striped_kernelIixLj64ELj1EEvPT_PT0_Pj,@function
_Z25scatter_to_striped_kernelIixLj64ELj1EEvPT_PT0_Pj: ; @_Z25scatter_to_striped_kernelIixLj64ELj1EEvPT_PT0_Pj
; %bb.0:
	s_load_dwordx4 s[0:3], s[4:5], 0x0
	s_load_dwordx2 s[8:9], s[4:5], 0x10
	s_lshl_b32 s4, s6, 6
	s_mov_b32 s5, 0
	s_lshl_b64 s[6:7], s[4:5], 2
	s_waitcnt lgkmcnt(0)
	s_add_u32 s0, s0, s6
	s_addc_u32 s1, s1, s7
	s_add_u32 s6, s8, s6
	v_lshlrev_b32_e32 v1, 2, v0
	s_addc_u32 s7, s9, s7
	global_load_dword v2, v1, s[6:7]
	global_load_dword v3, v1, s[0:1]
	s_lshl_b64 s[0:1], s[4:5], 3
	s_add_u32 s0, s2, s0
	s_addc_u32 s1, s3, s1
	v_lshlrev_b32_e32 v0, 3, v0
	s_waitcnt vmcnt(1)
	v_lshlrev_b32_e32 v2, 2, v2
	s_waitcnt vmcnt(0)
	ds_write_b32 v2, v3
	s_waitcnt lgkmcnt(0)
	s_barrier
	ds_read_b32 v2, v1
	s_waitcnt lgkmcnt(0)
	v_ashrrev_i32_e32 v3, 31, v2
	global_store_dwordx2 v0, v[2:3], s[0:1]
	s_endpgm
	.section	.rodata,"a",@progbits
	.p2align	6, 0x0
	.amdhsa_kernel _Z25scatter_to_striped_kernelIixLj64ELj1EEvPT_PT0_Pj
		.amdhsa_group_segment_fixed_size 256
		.amdhsa_private_segment_fixed_size 0
		.amdhsa_kernarg_size 24
		.amdhsa_user_sgpr_count 6
		.amdhsa_user_sgpr_private_segment_buffer 1
		.amdhsa_user_sgpr_dispatch_ptr 0
		.amdhsa_user_sgpr_queue_ptr 0
		.amdhsa_user_sgpr_kernarg_segment_ptr 1
		.amdhsa_user_sgpr_dispatch_id 0
		.amdhsa_user_sgpr_flat_scratch_init 0
		.amdhsa_user_sgpr_kernarg_preload_length 0
		.amdhsa_user_sgpr_kernarg_preload_offset 0
		.amdhsa_user_sgpr_private_segment_size 0
		.amdhsa_uses_dynamic_stack 0
		.amdhsa_system_sgpr_private_segment_wavefront_offset 0
		.amdhsa_system_sgpr_workgroup_id_x 1
		.amdhsa_system_sgpr_workgroup_id_y 0
		.amdhsa_system_sgpr_workgroup_id_z 0
		.amdhsa_system_sgpr_workgroup_info 0
		.amdhsa_system_vgpr_workitem_id 0
		.amdhsa_next_free_vgpr 4
		.amdhsa_next_free_sgpr 10
		.amdhsa_accum_offset 4
		.amdhsa_reserve_vcc 0
		.amdhsa_reserve_flat_scratch 0
		.amdhsa_float_round_mode_32 0
		.amdhsa_float_round_mode_16_64 0
		.amdhsa_float_denorm_mode_32 3
		.amdhsa_float_denorm_mode_16_64 3
		.amdhsa_dx10_clamp 1
		.amdhsa_ieee_mode 1
		.amdhsa_fp16_overflow 0
		.amdhsa_tg_split 0
		.amdhsa_exception_fp_ieee_invalid_op 0
		.amdhsa_exception_fp_denorm_src 0
		.amdhsa_exception_fp_ieee_div_zero 0
		.amdhsa_exception_fp_ieee_overflow 0
		.amdhsa_exception_fp_ieee_underflow 0
		.amdhsa_exception_fp_ieee_inexact 0
		.amdhsa_exception_int_div_zero 0
	.end_amdhsa_kernel
	.section	.text._Z25scatter_to_striped_kernelIixLj64ELj1EEvPT_PT0_Pj,"axG",@progbits,_Z25scatter_to_striped_kernelIixLj64ELj1EEvPT_PT0_Pj,comdat
.Lfunc_end109:
	.size	_Z25scatter_to_striped_kernelIixLj64ELj1EEvPT_PT0_Pj, .Lfunc_end109-_Z25scatter_to_striped_kernelIixLj64ELj1EEvPT_PT0_Pj
                                        ; -- End function
	.section	.AMDGPU.csdata,"",@progbits
; Kernel info:
; codeLenInByte = 140
; NumSgprs: 14
; NumVgprs: 4
; NumAgprs: 0
; TotalNumVgprs: 4
; ScratchSize: 0
; MemoryBound: 0
; FloatMode: 240
; IeeeMode: 1
; LDSByteSize: 256 bytes/workgroup (compile time only)
; SGPRBlocks: 1
; VGPRBlocks: 0
; NumSGPRsForWavesPerEU: 14
; NumVGPRsForWavesPerEU: 4
; AccumOffset: 4
; Occupancy: 8
; WaveLimiterHint : 0
; COMPUTE_PGM_RSRC2:SCRATCH_EN: 0
; COMPUTE_PGM_RSRC2:USER_SGPR: 6
; COMPUTE_PGM_RSRC2:TRAP_HANDLER: 0
; COMPUTE_PGM_RSRC2:TGID_X_EN: 1
; COMPUTE_PGM_RSRC2:TGID_Y_EN: 0
; COMPUTE_PGM_RSRC2:TGID_Z_EN: 0
; COMPUTE_PGM_RSRC2:TIDIG_COMP_CNT: 0
; COMPUTE_PGM_RSRC3_GFX90A:ACCUM_OFFSET: 0
; COMPUTE_PGM_RSRC3_GFX90A:TG_SPLIT: 0
	.section	.text._Z25scatter_to_striped_kernelI6__halfS0_Lj512ELj4EEvPT_PT0_Pj,"axG",@progbits,_Z25scatter_to_striped_kernelI6__halfS0_Lj512ELj4EEvPT_PT0_Pj,comdat
	.protected	_Z25scatter_to_striped_kernelI6__halfS0_Lj512ELj4EEvPT_PT0_Pj ; -- Begin function _Z25scatter_to_striped_kernelI6__halfS0_Lj512ELj4EEvPT_PT0_Pj
	.globl	_Z25scatter_to_striped_kernelI6__halfS0_Lj512ELj4EEvPT_PT0_Pj
	.p2align	8
	.type	_Z25scatter_to_striped_kernelI6__halfS0_Lj512ELj4EEvPT_PT0_Pj,@function
_Z25scatter_to_striped_kernelI6__halfS0_Lj512ELj4EEvPT_PT0_Pj: ; @_Z25scatter_to_striped_kernelI6__halfS0_Lj512ELj4EEvPT_PT0_Pj
; %bb.0:
	s_load_dwordx4 s[0:3], s[4:5], 0x0
	s_load_dwordx2 s[8:9], s[4:5], 0x10
	s_lshl_b32 s4, s6, 9
	s_mov_b32 s5, 0
	s_lshl_b64 s[6:7], s[4:5], 1
	s_waitcnt lgkmcnt(0)
	s_add_u32 s0, s0, s6
	s_addc_u32 s1, s1, s7
	s_lshl_b64 s[4:5], s[4:5], 2
	s_add_u32 s4, s8, s4
	s_addc_u32 s5, s9, s5
	v_lshlrev_b32_e32 v1, 4, v0
	global_load_dwordx4 v[2:5], v1, s[4:5]
	v_lshlrev_b32_e32 v8, 3, v0
	global_load_dwordx2 v[6:7], v8, s[0:1]
	v_lshlrev_b32_e32 v0, 1, v0
	s_mov_b32 s4, 0x5040100
	s_add_u32 s0, s2, s6
	s_addc_u32 s1, s3, s7
	s_waitcnt vmcnt(1)
	v_lshlrev_b32_e32 v1, 1, v2
	v_lshlrev_b32_e32 v2, 1, v3
	;; [unrolled: 1-line block ×4, first 2 shown]
	s_waitcnt vmcnt(0)
	ds_write_b16 v1, v6
	ds_write_b16_d16_hi v2, v6
	ds_write_b16 v3, v7
	ds_write_b16_d16_hi v4, v7
	s_waitcnt lgkmcnt(0)
	s_barrier
	ds_read_u16 v1, v0 offset:512
	ds_read_u16 v2, v0 offset:768
	ds_read_u16 v3, v0
	ds_read_u16 v0, v0 offset:256
	s_waitcnt lgkmcnt(2)
	v_perm_b32 v1, v2, v1, s4
	s_waitcnt lgkmcnt(0)
	v_perm_b32 v0, v0, v3, s4
	global_store_dwordx2 v8, v[0:1], s[0:1]
	s_endpgm
	.section	.rodata,"a",@progbits
	.p2align	6, 0x0
	.amdhsa_kernel _Z25scatter_to_striped_kernelI6__halfS0_Lj512ELj4EEvPT_PT0_Pj
		.amdhsa_group_segment_fixed_size 1056
		.amdhsa_private_segment_fixed_size 0
		.amdhsa_kernarg_size 24
		.amdhsa_user_sgpr_count 6
		.amdhsa_user_sgpr_private_segment_buffer 1
		.amdhsa_user_sgpr_dispatch_ptr 0
		.amdhsa_user_sgpr_queue_ptr 0
		.amdhsa_user_sgpr_kernarg_segment_ptr 1
		.amdhsa_user_sgpr_dispatch_id 0
		.amdhsa_user_sgpr_flat_scratch_init 0
		.amdhsa_user_sgpr_kernarg_preload_length 0
		.amdhsa_user_sgpr_kernarg_preload_offset 0
		.amdhsa_user_sgpr_private_segment_size 0
		.amdhsa_uses_dynamic_stack 0
		.amdhsa_system_sgpr_private_segment_wavefront_offset 0
		.amdhsa_system_sgpr_workgroup_id_x 1
		.amdhsa_system_sgpr_workgroup_id_y 0
		.amdhsa_system_sgpr_workgroup_id_z 0
		.amdhsa_system_sgpr_workgroup_info 0
		.amdhsa_system_vgpr_workitem_id 0
		.amdhsa_next_free_vgpr 9
		.amdhsa_next_free_sgpr 10
		.amdhsa_accum_offset 12
		.amdhsa_reserve_vcc 0
		.amdhsa_reserve_flat_scratch 0
		.amdhsa_float_round_mode_32 0
		.amdhsa_float_round_mode_16_64 0
		.amdhsa_float_denorm_mode_32 3
		.amdhsa_float_denorm_mode_16_64 3
		.amdhsa_dx10_clamp 1
		.amdhsa_ieee_mode 1
		.amdhsa_fp16_overflow 0
		.amdhsa_tg_split 0
		.amdhsa_exception_fp_ieee_invalid_op 0
		.amdhsa_exception_fp_denorm_src 0
		.amdhsa_exception_fp_ieee_div_zero 0
		.amdhsa_exception_fp_ieee_overflow 0
		.amdhsa_exception_fp_ieee_underflow 0
		.amdhsa_exception_fp_ieee_inexact 0
		.amdhsa_exception_int_div_zero 0
	.end_amdhsa_kernel
	.section	.text._Z25scatter_to_striped_kernelI6__halfS0_Lj512ELj4EEvPT_PT0_Pj,"axG",@progbits,_Z25scatter_to_striped_kernelI6__halfS0_Lj512ELj4EEvPT_PT0_Pj,comdat
.Lfunc_end110:
	.size	_Z25scatter_to_striped_kernelI6__halfS0_Lj512ELj4EEvPT_PT0_Pj, .Lfunc_end110-_Z25scatter_to_striped_kernelI6__halfS0_Lj512ELj4EEvPT_PT0_Pj
                                        ; -- End function
	.section	.AMDGPU.csdata,"",@progbits
; Kernel info:
; codeLenInByte = 228
; NumSgprs: 14
; NumVgprs: 9
; NumAgprs: 0
; TotalNumVgprs: 9
; ScratchSize: 0
; MemoryBound: 0
; FloatMode: 240
; IeeeMode: 1
; LDSByteSize: 1056 bytes/workgroup (compile time only)
; SGPRBlocks: 1
; VGPRBlocks: 1
; NumSGPRsForWavesPerEU: 14
; NumVGPRsForWavesPerEU: 9
; AccumOffset: 12
; Occupancy: 8
; WaveLimiterHint : 0
; COMPUTE_PGM_RSRC2:SCRATCH_EN: 0
; COMPUTE_PGM_RSRC2:USER_SGPR: 6
; COMPUTE_PGM_RSRC2:TRAP_HANDLER: 0
; COMPUTE_PGM_RSRC2:TGID_X_EN: 1
; COMPUTE_PGM_RSRC2:TGID_Y_EN: 0
; COMPUTE_PGM_RSRC2:TGID_Z_EN: 0
; COMPUTE_PGM_RSRC2:TIDIG_COMP_CNT: 0
; COMPUTE_PGM_RSRC3_GFX90A:ACCUM_OFFSET: 2
; COMPUTE_PGM_RSRC3_GFX90A:TG_SPLIT: 0
	.section	.text._Z25scatter_to_striped_kernelI12hip_bfloat16S0_Lj512ELj4EEvPT_PT0_Pj,"axG",@progbits,_Z25scatter_to_striped_kernelI12hip_bfloat16S0_Lj512ELj4EEvPT_PT0_Pj,comdat
	.protected	_Z25scatter_to_striped_kernelI12hip_bfloat16S0_Lj512ELj4EEvPT_PT0_Pj ; -- Begin function _Z25scatter_to_striped_kernelI12hip_bfloat16S0_Lj512ELj4EEvPT_PT0_Pj
	.globl	_Z25scatter_to_striped_kernelI12hip_bfloat16S0_Lj512ELj4EEvPT_PT0_Pj
	.p2align	8
	.type	_Z25scatter_to_striped_kernelI12hip_bfloat16S0_Lj512ELj4EEvPT_PT0_Pj,@function
_Z25scatter_to_striped_kernelI12hip_bfloat16S0_Lj512ELj4EEvPT_PT0_Pj: ; @_Z25scatter_to_striped_kernelI12hip_bfloat16S0_Lj512ELj4EEvPT_PT0_Pj
; %bb.0:
	s_load_dwordx4 s[0:3], s[4:5], 0x0
	s_load_dwordx2 s[8:9], s[4:5], 0x10
	s_lshl_b32 s4, s6, 9
	s_mov_b32 s5, 0
	s_lshl_b64 s[6:7], s[4:5], 1
	s_waitcnt lgkmcnt(0)
	s_add_u32 s0, s0, s6
	s_addc_u32 s1, s1, s7
	s_lshl_b64 s[4:5], s[4:5], 2
	s_add_u32 s4, s8, s4
	s_addc_u32 s5, s9, s5
	v_lshlrev_b32_e32 v1, 4, v0
	global_load_dwordx4 v[2:5], v1, s[4:5]
	v_lshlrev_b32_e32 v8, 3, v0
	global_load_dwordx2 v[6:7], v8, s[0:1]
	v_lshlrev_b32_e32 v0, 1, v0
	s_mov_b32 s4, 0x5040100
	s_add_u32 s0, s2, s6
	s_addc_u32 s1, s3, s7
	s_waitcnt vmcnt(1)
	v_lshlrev_b32_e32 v1, 1, v2
	v_lshlrev_b32_e32 v2, 1, v3
	;; [unrolled: 1-line block ×4, first 2 shown]
	s_waitcnt vmcnt(0)
	ds_write_b16 v1, v6
	ds_write_b16_d16_hi v2, v6
	ds_write_b16 v3, v7
	ds_write_b16_d16_hi v4, v7
	s_waitcnt lgkmcnt(0)
	s_barrier
	ds_read_u16 v1, v0 offset:512
	ds_read_u16 v2, v0 offset:768
	ds_read_u16 v3, v0
	ds_read_u16 v0, v0 offset:256
	s_waitcnt lgkmcnt(2)
	v_perm_b32 v1, v2, v1, s4
	s_waitcnt lgkmcnt(0)
	v_perm_b32 v0, v0, v3, s4
	global_store_dwordx2 v8, v[0:1], s[0:1]
	s_endpgm
	.section	.rodata,"a",@progbits
	.p2align	6, 0x0
	.amdhsa_kernel _Z25scatter_to_striped_kernelI12hip_bfloat16S0_Lj512ELj4EEvPT_PT0_Pj
		.amdhsa_group_segment_fixed_size 1056
		.amdhsa_private_segment_fixed_size 0
		.amdhsa_kernarg_size 24
		.amdhsa_user_sgpr_count 6
		.amdhsa_user_sgpr_private_segment_buffer 1
		.amdhsa_user_sgpr_dispatch_ptr 0
		.amdhsa_user_sgpr_queue_ptr 0
		.amdhsa_user_sgpr_kernarg_segment_ptr 1
		.amdhsa_user_sgpr_dispatch_id 0
		.amdhsa_user_sgpr_flat_scratch_init 0
		.amdhsa_user_sgpr_kernarg_preload_length 0
		.amdhsa_user_sgpr_kernarg_preload_offset 0
		.amdhsa_user_sgpr_private_segment_size 0
		.amdhsa_uses_dynamic_stack 0
		.amdhsa_system_sgpr_private_segment_wavefront_offset 0
		.amdhsa_system_sgpr_workgroup_id_x 1
		.amdhsa_system_sgpr_workgroup_id_y 0
		.amdhsa_system_sgpr_workgroup_id_z 0
		.amdhsa_system_sgpr_workgroup_info 0
		.amdhsa_system_vgpr_workitem_id 0
		.amdhsa_next_free_vgpr 9
		.amdhsa_next_free_sgpr 10
		.amdhsa_accum_offset 12
		.amdhsa_reserve_vcc 0
		.amdhsa_reserve_flat_scratch 0
		.amdhsa_float_round_mode_32 0
		.amdhsa_float_round_mode_16_64 0
		.amdhsa_float_denorm_mode_32 3
		.amdhsa_float_denorm_mode_16_64 3
		.amdhsa_dx10_clamp 1
		.amdhsa_ieee_mode 1
		.amdhsa_fp16_overflow 0
		.amdhsa_tg_split 0
		.amdhsa_exception_fp_ieee_invalid_op 0
		.amdhsa_exception_fp_denorm_src 0
		.amdhsa_exception_fp_ieee_div_zero 0
		.amdhsa_exception_fp_ieee_overflow 0
		.amdhsa_exception_fp_ieee_underflow 0
		.amdhsa_exception_fp_ieee_inexact 0
		.amdhsa_exception_int_div_zero 0
	.end_amdhsa_kernel
	.section	.text._Z25scatter_to_striped_kernelI12hip_bfloat16S0_Lj512ELj4EEvPT_PT0_Pj,"axG",@progbits,_Z25scatter_to_striped_kernelI12hip_bfloat16S0_Lj512ELj4EEvPT_PT0_Pj,comdat
.Lfunc_end111:
	.size	_Z25scatter_to_striped_kernelI12hip_bfloat16S0_Lj512ELj4EEvPT_PT0_Pj, .Lfunc_end111-_Z25scatter_to_striped_kernelI12hip_bfloat16S0_Lj512ELj4EEvPT_PT0_Pj
                                        ; -- End function
	.section	.AMDGPU.csdata,"",@progbits
; Kernel info:
; codeLenInByte = 228
; NumSgprs: 14
; NumVgprs: 9
; NumAgprs: 0
; TotalNumVgprs: 9
; ScratchSize: 0
; MemoryBound: 0
; FloatMode: 240
; IeeeMode: 1
; LDSByteSize: 1056 bytes/workgroup (compile time only)
; SGPRBlocks: 1
; VGPRBlocks: 1
; NumSGPRsForWavesPerEU: 14
; NumVGPRsForWavesPerEU: 9
; AccumOffset: 12
; Occupancy: 8
; WaveLimiterHint : 0
; COMPUTE_PGM_RSRC2:SCRATCH_EN: 0
; COMPUTE_PGM_RSRC2:USER_SGPR: 6
; COMPUTE_PGM_RSRC2:TRAP_HANDLER: 0
; COMPUTE_PGM_RSRC2:TGID_X_EN: 1
; COMPUTE_PGM_RSRC2:TGID_Y_EN: 0
; COMPUTE_PGM_RSRC2:TGID_Z_EN: 0
; COMPUTE_PGM_RSRC2:TIDIG_COMP_CNT: 0
; COMPUTE_PGM_RSRC3_GFX90A:ACCUM_OFFSET: 2
; COMPUTE_PGM_RSRC3_GFX90A:TG_SPLIT: 0
	.section	.text._Z25scatter_to_striped_kernelIfdLj512ELj4EEvPT_PT0_Pj,"axG",@progbits,_Z25scatter_to_striped_kernelIfdLj512ELj4EEvPT_PT0_Pj,comdat
	.protected	_Z25scatter_to_striped_kernelIfdLj512ELj4EEvPT_PT0_Pj ; -- Begin function _Z25scatter_to_striped_kernelIfdLj512ELj4EEvPT_PT0_Pj
	.globl	_Z25scatter_to_striped_kernelIfdLj512ELj4EEvPT_PT0_Pj
	.p2align	8
	.type	_Z25scatter_to_striped_kernelIfdLj512ELj4EEvPT_PT0_Pj,@function
_Z25scatter_to_striped_kernelIfdLj512ELj4EEvPT_PT0_Pj: ; @_Z25scatter_to_striped_kernelIfdLj512ELj4EEvPT_PT0_Pj
; %bb.0:
	s_load_dwordx4 s[0:3], s[4:5], 0x0
	s_load_dwordx2 s[8:9], s[4:5], 0x10
	s_lshl_b32 s4, s6, 9
	s_mov_b32 s5, 0
	s_lshl_b64 s[6:7], s[4:5], 2
	s_waitcnt lgkmcnt(0)
	s_add_u32 s0, s0, s6
	s_addc_u32 s1, s1, s7
	s_add_u32 s6, s8, s6
	v_lshlrev_b32_e32 v1, 4, v0
	s_addc_u32 s7, s9, s7
	global_load_dwordx4 v[2:5], v1, s[6:7]
	global_load_dwordx4 v[6:9], v1, s[0:1]
	v_lshlrev_b32_e32 v1, 2, v0
	v_lshlrev_b32_e32 v10, 5, v0
	s_lshl_b64 s[0:1], s[4:5], 3
	s_add_u32 s0, s2, s0
	s_addc_u32 s1, s3, s1
	s_waitcnt vmcnt(1)
	v_lshlrev_b32_e32 v0, 2, v2
	v_lshlrev_b32_e32 v2, 2, v3
	v_lshlrev_b32_e32 v3, 2, v4
	v_lshlrev_b32_e32 v4, 2, v5
	s_waitcnt vmcnt(0)
	ds_write_b32 v0, v6
	ds_write_b32 v2, v7
	ds_write_b32 v3, v8
	ds_write_b32 v4, v9
	s_waitcnt lgkmcnt(0)
	s_barrier
	ds_read2st64_b32 v[2:3], v1 offset1:2
	ds_read2st64_b32 v[6:7], v1 offset0:4 offset1:6
	s_waitcnt lgkmcnt(1)
	v_cvt_f64_f32_e32 v[0:1], v2
	v_cvt_f64_f32_e32 v[2:3], v3
	s_waitcnt lgkmcnt(0)
	v_cvt_f64_f32_e32 v[4:5], v6
	v_cvt_f64_f32_e32 v[6:7], v7
	global_store_dwordx4 v10, v[0:3], s[0:1]
	global_store_dwordx4 v10, v[4:7], s[0:1] offset:16
	s_endpgm
	.section	.rodata,"a",@progbits
	.p2align	6, 0x0
	.amdhsa_kernel _Z25scatter_to_striped_kernelIfdLj512ELj4EEvPT_PT0_Pj
		.amdhsa_group_segment_fixed_size 2112
		.amdhsa_private_segment_fixed_size 0
		.amdhsa_kernarg_size 24
		.amdhsa_user_sgpr_count 6
		.amdhsa_user_sgpr_private_segment_buffer 1
		.amdhsa_user_sgpr_dispatch_ptr 0
		.amdhsa_user_sgpr_queue_ptr 0
		.amdhsa_user_sgpr_kernarg_segment_ptr 1
		.amdhsa_user_sgpr_dispatch_id 0
		.amdhsa_user_sgpr_flat_scratch_init 0
		.amdhsa_user_sgpr_kernarg_preload_length 0
		.amdhsa_user_sgpr_kernarg_preload_offset 0
		.amdhsa_user_sgpr_private_segment_size 0
		.amdhsa_uses_dynamic_stack 0
		.amdhsa_system_sgpr_private_segment_wavefront_offset 0
		.amdhsa_system_sgpr_workgroup_id_x 1
		.amdhsa_system_sgpr_workgroup_id_y 0
		.amdhsa_system_sgpr_workgroup_id_z 0
		.amdhsa_system_sgpr_workgroup_info 0
		.amdhsa_system_vgpr_workitem_id 0
		.amdhsa_next_free_vgpr 11
		.amdhsa_next_free_sgpr 10
		.amdhsa_accum_offset 12
		.amdhsa_reserve_vcc 0
		.amdhsa_reserve_flat_scratch 0
		.amdhsa_float_round_mode_32 0
		.amdhsa_float_round_mode_16_64 0
		.amdhsa_float_denorm_mode_32 3
		.amdhsa_float_denorm_mode_16_64 3
		.amdhsa_dx10_clamp 1
		.amdhsa_ieee_mode 1
		.amdhsa_fp16_overflow 0
		.amdhsa_tg_split 0
		.amdhsa_exception_fp_ieee_invalid_op 0
		.amdhsa_exception_fp_denorm_src 0
		.amdhsa_exception_fp_ieee_div_zero 0
		.amdhsa_exception_fp_ieee_overflow 0
		.amdhsa_exception_fp_ieee_underflow 0
		.amdhsa_exception_fp_ieee_inexact 0
		.amdhsa_exception_int_div_zero 0
	.end_amdhsa_kernel
	.section	.text._Z25scatter_to_striped_kernelIfdLj512ELj4EEvPT_PT0_Pj,"axG",@progbits,_Z25scatter_to_striped_kernelIfdLj512ELj4EEvPT_PT0_Pj,comdat
.Lfunc_end112:
	.size	_Z25scatter_to_striped_kernelIfdLj512ELj4EEvPT_PT0_Pj, .Lfunc_end112-_Z25scatter_to_striped_kernelIfdLj512ELj4EEvPT_PT0_Pj
                                        ; -- End function
	.section	.AMDGPU.csdata,"",@progbits
; Kernel info:
; codeLenInByte = 212
; NumSgprs: 14
; NumVgprs: 11
; NumAgprs: 0
; TotalNumVgprs: 11
; ScratchSize: 0
; MemoryBound: 0
; FloatMode: 240
; IeeeMode: 1
; LDSByteSize: 2112 bytes/workgroup (compile time only)
; SGPRBlocks: 1
; VGPRBlocks: 1
; NumSGPRsForWavesPerEU: 14
; NumVGPRsForWavesPerEU: 11
; AccumOffset: 12
; Occupancy: 8
; WaveLimiterHint : 0
; COMPUTE_PGM_RSRC2:SCRATCH_EN: 0
; COMPUTE_PGM_RSRC2:USER_SGPR: 6
; COMPUTE_PGM_RSRC2:TRAP_HANDLER: 0
; COMPUTE_PGM_RSRC2:TGID_X_EN: 1
; COMPUTE_PGM_RSRC2:TGID_Y_EN: 0
; COMPUTE_PGM_RSRC2:TGID_Z_EN: 0
; COMPUTE_PGM_RSRC2:TIDIG_COMP_CNT: 0
; COMPUTE_PGM_RSRC3_GFX90A:ACCUM_OFFSET: 2
; COMPUTE_PGM_RSRC3_GFX90A:TG_SPLIT: 0
	.section	.text._Z25scatter_to_striped_kernelIiiLj512ELj4EEvPT_PT0_Pj,"axG",@progbits,_Z25scatter_to_striped_kernelIiiLj512ELj4EEvPT_PT0_Pj,comdat
	.protected	_Z25scatter_to_striped_kernelIiiLj512ELj4EEvPT_PT0_Pj ; -- Begin function _Z25scatter_to_striped_kernelIiiLj512ELj4EEvPT_PT0_Pj
	.globl	_Z25scatter_to_striped_kernelIiiLj512ELj4EEvPT_PT0_Pj
	.p2align	8
	.type	_Z25scatter_to_striped_kernelIiiLj512ELj4EEvPT_PT0_Pj,@function
_Z25scatter_to_striped_kernelIiiLj512ELj4EEvPT_PT0_Pj: ; @_Z25scatter_to_striped_kernelIiiLj512ELj4EEvPT_PT0_Pj
; %bb.0:
	s_load_dwordx4 s[0:3], s[4:5], 0x0
	s_load_dwordx2 s[8:9], s[4:5], 0x10
	s_lshl_b32 s4, s6, 9
	s_mov_b32 s5, 0
	s_lshl_b64 s[4:5], s[4:5], 2
	s_waitcnt lgkmcnt(0)
	s_add_u32 s0, s0, s4
	s_addc_u32 s1, s1, s5
	s_add_u32 s6, s8, s4
	v_lshlrev_b32_e32 v10, 4, v0
	s_addc_u32 s7, s9, s5
	global_load_dwordx4 v[2:5], v10, s[6:7]
	global_load_dwordx4 v[6:9], v10, s[0:1]
	v_lshlrev_b32_e32 v11, 2, v0
	s_add_u32 s0, s2, s4
	s_addc_u32 s1, s3, s5
	s_waitcnt vmcnt(1)
	v_lshlrev_b32_e32 v0, 2, v2
	v_lshlrev_b32_e32 v1, 2, v3
	;; [unrolled: 1-line block ×4, first 2 shown]
	s_waitcnt vmcnt(0)
	ds_write_b32 v0, v6
	ds_write_b32 v1, v7
	;; [unrolled: 1-line block ×4, first 2 shown]
	s_waitcnt lgkmcnt(0)
	s_barrier
	ds_read2st64_b32 v[0:1], v11 offset1:2
	ds_read2st64_b32 v[2:3], v11 offset0:4 offset1:6
	s_waitcnt lgkmcnt(0)
	global_store_dwordx4 v10, v[0:3], s[0:1]
	s_endpgm
	.section	.rodata,"a",@progbits
	.p2align	6, 0x0
	.amdhsa_kernel _Z25scatter_to_striped_kernelIiiLj512ELj4EEvPT_PT0_Pj
		.amdhsa_group_segment_fixed_size 2112
		.amdhsa_private_segment_fixed_size 0
		.amdhsa_kernarg_size 24
		.amdhsa_user_sgpr_count 6
		.amdhsa_user_sgpr_private_segment_buffer 1
		.amdhsa_user_sgpr_dispatch_ptr 0
		.amdhsa_user_sgpr_queue_ptr 0
		.amdhsa_user_sgpr_kernarg_segment_ptr 1
		.amdhsa_user_sgpr_dispatch_id 0
		.amdhsa_user_sgpr_flat_scratch_init 0
		.amdhsa_user_sgpr_kernarg_preload_length 0
		.amdhsa_user_sgpr_kernarg_preload_offset 0
		.amdhsa_user_sgpr_private_segment_size 0
		.amdhsa_uses_dynamic_stack 0
		.amdhsa_system_sgpr_private_segment_wavefront_offset 0
		.amdhsa_system_sgpr_workgroup_id_x 1
		.amdhsa_system_sgpr_workgroup_id_y 0
		.amdhsa_system_sgpr_workgroup_id_z 0
		.amdhsa_system_sgpr_workgroup_info 0
		.amdhsa_system_vgpr_workitem_id 0
		.amdhsa_next_free_vgpr 12
		.amdhsa_next_free_sgpr 10
		.amdhsa_accum_offset 12
		.amdhsa_reserve_vcc 0
		.amdhsa_reserve_flat_scratch 0
		.amdhsa_float_round_mode_32 0
		.amdhsa_float_round_mode_16_64 0
		.amdhsa_float_denorm_mode_32 3
		.amdhsa_float_denorm_mode_16_64 3
		.amdhsa_dx10_clamp 1
		.amdhsa_ieee_mode 1
		.amdhsa_fp16_overflow 0
		.amdhsa_tg_split 0
		.amdhsa_exception_fp_ieee_invalid_op 0
		.amdhsa_exception_fp_denorm_src 0
		.amdhsa_exception_fp_ieee_div_zero 0
		.amdhsa_exception_fp_ieee_overflow 0
		.amdhsa_exception_fp_ieee_underflow 0
		.amdhsa_exception_fp_ieee_inexact 0
		.amdhsa_exception_int_div_zero 0
	.end_amdhsa_kernel
	.section	.text._Z25scatter_to_striped_kernelIiiLj512ELj4EEvPT_PT0_Pj,"axG",@progbits,_Z25scatter_to_striped_kernelIiiLj512ELj4EEvPT_PT0_Pj,comdat
.Lfunc_end113:
	.size	_Z25scatter_to_striped_kernelIiiLj512ELj4EEvPT_PT0_Pj, .Lfunc_end113-_Z25scatter_to_striped_kernelIiiLj512ELj4EEvPT_PT0_Pj
                                        ; -- End function
	.section	.AMDGPU.csdata,"",@progbits
; Kernel info:
; codeLenInByte = 176
; NumSgprs: 14
; NumVgprs: 12
; NumAgprs: 0
; TotalNumVgprs: 12
; ScratchSize: 0
; MemoryBound: 0
; FloatMode: 240
; IeeeMode: 1
; LDSByteSize: 2112 bytes/workgroup (compile time only)
; SGPRBlocks: 1
; VGPRBlocks: 1
; NumSGPRsForWavesPerEU: 14
; NumVGPRsForWavesPerEU: 12
; AccumOffset: 12
; Occupancy: 8
; WaveLimiterHint : 0
; COMPUTE_PGM_RSRC2:SCRATCH_EN: 0
; COMPUTE_PGM_RSRC2:USER_SGPR: 6
; COMPUTE_PGM_RSRC2:TRAP_HANDLER: 0
; COMPUTE_PGM_RSRC2:TGID_X_EN: 1
; COMPUTE_PGM_RSRC2:TGID_Y_EN: 0
; COMPUTE_PGM_RSRC2:TGID_Z_EN: 0
; COMPUTE_PGM_RSRC2:TIDIG_COMP_CNT: 0
; COMPUTE_PGM_RSRC3_GFX90A:ACCUM_OFFSET: 2
; COMPUTE_PGM_RSRC3_GFX90A:TG_SPLIT: 0
	.text
	.p2alignl 6, 3212836864
	.fill 256, 4, 3212836864
	.type	__hip_cuid_d3c5c48736e70f57,@object ; @__hip_cuid_d3c5c48736e70f57
	.section	.bss,"aw",@nobits
	.globl	__hip_cuid_d3c5c48736e70f57
__hip_cuid_d3c5c48736e70f57:
	.byte	0                               ; 0x0
	.size	__hip_cuid_d3c5c48736e70f57, 1

	.ident	"AMD clang version 19.0.0git (https://github.com/RadeonOpenCompute/llvm-project roc-6.4.0 25133 c7fe45cf4b819c5991fe208aaa96edf142730f1d)"
	.section	".note.GNU-stack","",@progbits
	.addrsig
	.addrsig_sym __hip_cuid_d3c5c48736e70f57
	.amdgpu_metadata
---
amdhsa.kernels:
  - .agpr_count:     0
    .args:
      - .address_space:  global
        .offset:         0
        .size:           8
        .value_kind:     global_buffer
      - .address_space:  global
        .offset:         8
        .size:           8
        .value_kind:     global_buffer
    .group_segment_fixed_size: 4224
    .kernarg_segment_align: 8
    .kernarg_segment_size: 16
    .language:       OpenCL C
    .language_version:
      - 2
      - 0
    .max_flat_workgroup_size: 512
    .name:           _Z25blocked_to_striped_kernelIsiLj2106ELj9EEvPT_PT0_
    .private_segment_fixed_size: 0
    .sgpr_count:     12
    .sgpr_spill_count: 0
    .symbol:         _Z25blocked_to_striped_kernelIsiLj2106ELj9EEvPT_PT0_.kd
    .uniform_work_group_size: 1
    .uses_dynamic_stack: false
    .vgpr_count:     10
    .vgpr_spill_count: 0
    .wavefront_size: 64
  - .agpr_count:     0
    .args:
      - .address_space:  global
        .offset:         0
        .size:           8
        .value_kind:     global_buffer
      - .address_space:  global
        .offset:         8
        .size:           8
        .value_kind:     global_buffer
    .group_segment_fixed_size: 608
    .kernarg_segment_align: 8
    .kernarg_segment_size: 16
    .language:       OpenCL C
    .language_version:
      - 2
      - 0
    .max_flat_workgroup_size: 512
    .name:           _Z25blocked_to_striped_kernelItjLj300ELj3EEvPT_PT0_
    .private_segment_fixed_size: 0
    .sgpr_count:     12
    .sgpr_spill_count: 0
    .symbol:         _Z25blocked_to_striped_kernelItjLj300ELj3EEvPT_PT0_.kd
    .uniform_work_group_size: 1
    .uses_dynamic_stack: false
    .vgpr_count:     6
    .vgpr_spill_count: 0
    .wavefront_size: 64
  - .agpr_count:     0
    .args:
      - .address_space:  global
        .offset:         0
        .size:           8
        .value_kind:     global_buffer
      - .address_space:  global
        .offset:         8
        .size:           8
        .value_kind:     global_buffer
    .group_segment_fixed_size: 960
    .kernarg_segment_align: 8
    .kernarg_segment_size: 16
    .language:       OpenCL C
    .language_version:
      - 2
      - 0
    .max_flat_workgroup_size: 512
    .name:           _Z25blocked_to_striped_kernelIc5dummyIdELj928ELj2EEvPT_PT0_
    .private_segment_fixed_size: 0
    .sgpr_count:     11
    .sgpr_spill_count: 0
    .symbol:         _Z25blocked_to_striped_kernelIc5dummyIdELj928ELj2EEvPT_PT0_.kd
    .uniform_work_group_size: 1
    .uses_dynamic_stack: false
    .vgpr_count:     9
    .vgpr_spill_count: 0
    .wavefront_size: 64
  - .agpr_count:     0
    .args:
      - .address_space:  global
        .offset:         0
        .size:           8
        .value_kind:     global_buffer
      - .address_space:  global
        .offset:         8
        .size:           8
        .value_kind:     global_buffer
    .group_segment_fixed_size: 672
    .kernarg_segment_align: 8
    .kernarg_segment_size: 16
    .language:       OpenCL C
    .language_version:
      - 2
      - 0
    .max_flat_workgroup_size: 512
    .name:           _Z25blocked_to_striped_kernelIfiLj165ELj5EEvPT_PT0_
    .private_segment_fixed_size: 0
    .sgpr_count:     11
    .sgpr_spill_count: 0
    .symbol:         _Z25blocked_to_striped_kernelIfiLj165ELj5EEvPT_PT0_.kd
    .uniform_work_group_size: 1
    .uses_dynamic_stack: false
    .vgpr_count:     8
    .vgpr_spill_count: 0
    .wavefront_size: 64
  - .agpr_count:     0
    .args:
      - .address_space:  global
        .offset:         0
        .size:           8
        .value_kind:     global_buffer
      - .address_space:  global
        .offset:         8
        .size:           8
        .value_kind:     global_buffer
    .group_segment_fixed_size: 672
    .kernarg_segment_align: 8
    .kernarg_segment_size: 16
    .language:       OpenCL C
    .language_version:
      - 2
      - 0
    .max_flat_workgroup_size: 512
    .name:           _Z25blocked_to_striped_kernelIidLj165ELj5EEvPT_PT0_
    .private_segment_fixed_size: 0
    .sgpr_count:     12
    .sgpr_spill_count: 0
    .symbol:         _Z25blocked_to_striped_kernelIidLj165ELj5EEvPT_PT0_.kd
    .uniform_work_group_size: 1
    .uses_dynamic_stack: false
    .vgpr_count:     11
    .vgpr_spill_count: 0
    .wavefront_size: 64
  - .agpr_count:     0
    .args:
      - .address_space:  global
        .offset:         0
        .size:           8
        .value_kind:     global_buffer
      - .address_space:  global
        .offset:         8
        .size:           8
        .value_kind:     global_buffer
    .group_segment_fixed_size: 1536
    .kernarg_segment_align: 8
    .kernarg_segment_size: 16
    .language:       OpenCL C
    .language_version:
      - 2
      - 0
    .max_flat_workgroup_size: 512
    .name:           _Z25blocked_to_striped_kernelIyyLj192ELj3EEvPT_PT0_
    .private_segment_fixed_size: 0
    .sgpr_count:     11
    .sgpr_spill_count: 0
    .symbol:         _Z25blocked_to_striped_kernelIyyLj192ELj3EEvPT_PT0_.kd
    .uniform_work_group_size: 1
    .uses_dynamic_stack: false
    .vgpr_count:     10
    .vgpr_spill_count: 0
    .wavefront_size: 64
  - .agpr_count:     0
    .args:
      - .address_space:  global
        .offset:         0
        .size:           8
        .value_kind:     global_buffer
      - .address_space:  global
        .offset:         8
        .size:           8
        .value_kind:     global_buffer
    .group_segment_fixed_size: 1536
    .kernarg_segment_align: 8
    .kernarg_segment_size: 16
    .language:       OpenCL C
    .language_version:
      - 2
      - 0
    .max_flat_workgroup_size: 512
    .name:           _Z25blocked_to_striped_kernelIiiLj384ELj3EEvPT_PT0_
    .private_segment_fixed_size: 0
    .sgpr_count:     11
    .sgpr_spill_count: 0
    .symbol:         _Z25blocked_to_striped_kernelIiiLj384ELj3EEvPT_PT0_.kd
    .uniform_work_group_size: 1
    .uses_dynamic_stack: false
    .vgpr_count:     7
    .vgpr_spill_count: 0
    .wavefront_size: 64
  - .agpr_count:     0
    .args:
      - .address_space:  global
        .offset:         0
        .size:           8
        .value_kind:     global_buffer
      - .address_space:  global
        .offset:         8
        .size:           8
        .value_kind:     global_buffer
    .group_segment_fixed_size: 1792
    .kernarg_segment_align: 8
    .kernarg_segment_size: 16
    .language:       OpenCL C
    .language_version:
      - 2
      - 0
    .max_flat_workgroup_size: 512
    .name:           _Z25blocked_to_striped_kernelIs5dummyIfELj896ELj7EEvPT_PT0_
    .private_segment_fixed_size: 0
    .sgpr_count:     12
    .sgpr_spill_count: 0
    .symbol:         _Z25blocked_to_striped_kernelIs5dummyIfELj896ELj7EEvPT_PT0_.kd
    .uniform_work_group_size: 1
    .uses_dynamic_stack: false
    .vgpr_count:     20
    .vgpr_spill_count: 0
    .wavefront_size: 64
  - .agpr_count:     0
    .args:
      - .address_space:  global
        .offset:         0
        .size:           8
        .value_kind:     global_buffer
      - .address_space:  global
        .offset:         8
        .size:           8
        .value_kind:     global_buffer
    .group_segment_fixed_size: 10240
    .kernarg_segment_align: 8
    .kernarg_segment_size: 16
    .language:       OpenCL C
    .language_version:
      - 2
      - 0
    .max_flat_workgroup_size: 512
    .name:           _Z25blocked_to_striped_kernelIiiLj2560ELj5EEvPT_PT0_
    .private_segment_fixed_size: 0
    .sgpr_count:     11
    .sgpr_spill_count: 0
    .symbol:         _Z25blocked_to_striped_kernelIiiLj2560ELj5EEvPT_PT0_.kd
    .uniform_work_group_size: 1
    .uses_dynamic_stack: false
    .vgpr_count:     8
    .vgpr_spill_count: 0
    .wavefront_size: 64
  - .agpr_count:     0
    .args:
      - .address_space:  global
        .offset:         0
        .size:           8
        .value_kind:     global_buffer
      - .address_space:  global
        .offset:         8
        .size:           8
        .value_kind:     global_buffer
    .group_segment_fixed_size: 8448
    .kernarg_segment_align: 8
    .kernarg_segment_size: 16
    .language:       OpenCL C
    .language_version:
      - 2
      - 0
    .max_flat_workgroup_size: 512
    .name:           _Z25blocked_to_striped_kernelIxxLj1024ELj4EEvPT_PT0_
    .private_segment_fixed_size: 0
    .sgpr_count:     11
    .sgpr_spill_count: 0
    .symbol:         _Z25blocked_to_striped_kernelIxxLj1024ELj4EEvPT_PT0_.kd
    .uniform_work_group_size: 1
    .uses_dynamic_stack: false
    .vgpr_count:     16
    .vgpr_spill_count: 0
    .wavefront_size: 64
  - .agpr_count:     0
    .args:
      - .address_space:  global
        .offset:         0
        .size:           8
        .value_kind:     global_buffer
      - .address_space:  global
        .offset:         8
        .size:           8
        .value_kind:     global_buffer
    .group_segment_fixed_size: 528
    .kernarg_segment_align: 8
    .kernarg_segment_size: 16
    .language:       OpenCL C
    .language_version:
      - 2
      - 0
    .max_flat_workgroup_size: 512
    .name:           _Z25blocked_to_striped_kernelIiiLj128ELj2EEvPT_PT0_
    .private_segment_fixed_size: 0
    .sgpr_count:     11
    .sgpr_spill_count: 0
    .symbol:         _Z25blocked_to_striped_kernelIiiLj128ELj2EEvPT_PT0_.kd
    .uniform_work_group_size: 1
    .uses_dynamic_stack: false
    .vgpr_count:     8
    .vgpr_spill_count: 0
    .wavefront_size: 64
  - .agpr_count:     0
    .args:
      - .address_space:  global
        .offset:         0
        .size:           8
        .value_kind:     global_buffer
      - .address_space:  global
        .offset:         8
        .size:           8
        .value_kind:     global_buffer
    .group_segment_fixed_size: 4096
    .kernarg_segment_align: 8
    .kernarg_segment_size: 16
    .language:       OpenCL C
    .language_version:
      - 2
      - 0
    .max_flat_workgroup_size: 512
    .name:           _Z25blocked_to_striped_kernelIxxLj512ELj1EEvPT_PT0_
    .private_segment_fixed_size: 0
    .sgpr_count:     11
    .sgpr_spill_count: 0
    .symbol:         _Z25blocked_to_striped_kernelIxxLj512ELj1EEvPT_PT0_.kd
    .uniform_work_group_size: 1
    .uses_dynamic_stack: false
    .vgpr_count:     3
    .vgpr_spill_count: 0
    .wavefront_size: 64
  - .agpr_count:     0
    .args:
      - .address_space:  global
        .offset:         0
        .size:           8
        .value_kind:     global_buffer
      - .address_space:  global
        .offset:         8
        .size:           8
        .value_kind:     global_buffer
    .group_segment_fixed_size: 512
    .kernarg_segment_align: 8
    .kernarg_segment_size: 16
    .language:       OpenCL C
    .language_version:
      - 2
      - 0
    .max_flat_workgroup_size: 512
    .name:           _Z25blocked_to_striped_kernelIs5dummyIiELj256ELj1EEvPT_PT0_
    .private_segment_fixed_size: 0
    .sgpr_count:     12
    .sgpr_spill_count: 0
    .symbol:         _Z25blocked_to_striped_kernelIs5dummyIiELj256ELj1EEvPT_PT0_.kd
    .uniform_work_group_size: 1
    .uses_dynamic_stack: false
    .vgpr_count:     4
    .vgpr_spill_count: 0
    .wavefront_size: 64
  - .agpr_count:     0
    .args:
      - .address_space:  global
        .offset:         0
        .size:           8
        .value_kind:     global_buffer
      - .address_space:  global
        .offset:         8
        .size:           8
        .value_kind:     global_buffer
    .group_segment_fixed_size: 1024
    .kernarg_segment_align: 8
    .kernarg_segment_size: 16
    .language:       OpenCL C
    .language_version:
      - 2
      - 0
    .max_flat_workgroup_size: 512
    .name:           _Z25blocked_to_striped_kernelIyyLj128ELj1EEvPT_PT0_
    .private_segment_fixed_size: 0
    .sgpr_count:     11
    .sgpr_spill_count: 0
    .symbol:         _Z25blocked_to_striped_kernelIyyLj128ELj1EEvPT_PT0_.kd
    .uniform_work_group_size: 1
    .uses_dynamic_stack: false
    .vgpr_count:     3
    .vgpr_spill_count: 0
    .wavefront_size: 64
  - .agpr_count:     0
    .args:
      - .address_space:  global
        .offset:         0
        .size:           8
        .value_kind:     global_buffer
      - .address_space:  global
        .offset:         8
        .size:           8
        .value_kind:     global_buffer
    .group_segment_fixed_size: 256
    .kernarg_segment_align: 8
    .kernarg_segment_size: 16
    .language:       OpenCL C
    .language_version:
      - 2
      - 0
    .max_flat_workgroup_size: 512
    .name:           _Z25blocked_to_striped_kernelIixLj64ELj1EEvPT_PT0_
    .private_segment_fixed_size: 0
    .sgpr_count:     12
    .sgpr_spill_count: 0
    .symbol:         _Z25blocked_to_striped_kernelIixLj64ELj1EEvPT_PT0_.kd
    .uniform_work_group_size: 1
    .uses_dynamic_stack: false
    .vgpr_count:     4
    .vgpr_spill_count: 0
    .wavefront_size: 64
  - .agpr_count:     0
    .args:
      - .address_space:  global
        .offset:         0
        .size:           8
        .value_kind:     global_buffer
      - .address_space:  global
        .offset:         8
        .size:           8
        .value_kind:     global_buffer
    .group_segment_fixed_size: 1056
    .kernarg_segment_align: 8
    .kernarg_segment_size: 16
    .language:       OpenCL C
    .language_version:
      - 2
      - 0
    .max_flat_workgroup_size: 512
    .name:           _Z25blocked_to_striped_kernelI6__halfS0_Lj512ELj4EEvPT_PT0_
    .private_segment_fixed_size: 0
    .sgpr_count:     11
    .sgpr_spill_count: 0
    .symbol:         _Z25blocked_to_striped_kernelI6__halfS0_Lj512ELj4EEvPT_PT0_.kd
    .uniform_work_group_size: 1
    .uses_dynamic_stack: false
    .vgpr_count:     10
    .vgpr_spill_count: 0
    .wavefront_size: 64
  - .agpr_count:     0
    .args:
      - .address_space:  global
        .offset:         0
        .size:           8
        .value_kind:     global_buffer
      - .address_space:  global
        .offset:         8
        .size:           8
        .value_kind:     global_buffer
    .group_segment_fixed_size: 1056
    .kernarg_segment_align: 8
    .kernarg_segment_size: 16
    .language:       OpenCL C
    .language_version:
      - 2
      - 0
    .max_flat_workgroup_size: 512
    .name:           _Z25blocked_to_striped_kernelI12hip_bfloat16S0_Lj512ELj4EEvPT_PT0_
    .private_segment_fixed_size: 0
    .sgpr_count:     11
    .sgpr_spill_count: 0
    .symbol:         _Z25blocked_to_striped_kernelI12hip_bfloat16S0_Lj512ELj4EEvPT_PT0_.kd
    .uniform_work_group_size: 1
    .uses_dynamic_stack: false
    .vgpr_count:     10
    .vgpr_spill_count: 0
    .wavefront_size: 64
  - .agpr_count:     0
    .args:
      - .address_space:  global
        .offset:         0
        .size:           8
        .value_kind:     global_buffer
      - .address_space:  global
        .offset:         8
        .size:           8
        .value_kind:     global_buffer
    .group_segment_fixed_size: 2112
    .kernarg_segment_align: 8
    .kernarg_segment_size: 16
    .language:       OpenCL C
    .language_version:
      - 2
      - 0
    .max_flat_workgroup_size: 512
    .name:           _Z25blocked_to_striped_kernelIfdLj512ELj4EEvPT_PT0_
    .private_segment_fixed_size: 0
    .sgpr_count:     12
    .sgpr_spill_count: 0
    .symbol:         _Z25blocked_to_striped_kernelIfdLj512ELj4EEvPT_PT0_.kd
    .uniform_work_group_size: 1
    .uses_dynamic_stack: false
    .vgpr_count:     12
    .vgpr_spill_count: 0
    .wavefront_size: 64
  - .agpr_count:     0
    .args:
      - .address_space:  global
        .offset:         0
        .size:           8
        .value_kind:     global_buffer
      - .address_space:  global
        .offset:         8
        .size:           8
        .value_kind:     global_buffer
    .group_segment_fixed_size: 2112
    .kernarg_segment_align: 8
    .kernarg_segment_size: 16
    .language:       OpenCL C
    .language_version:
      - 2
      - 0
    .max_flat_workgroup_size: 512
    .name:           _Z25blocked_to_striped_kernelIiiLj512ELj4EEvPT_PT0_
    .private_segment_fixed_size: 0
    .sgpr_count:     11
    .sgpr_spill_count: 0
    .symbol:         _Z25blocked_to_striped_kernelIiiLj512ELj4EEvPT_PT0_.kd
    .uniform_work_group_size: 1
    .uses_dynamic_stack: false
    .vgpr_count:     12
    .vgpr_spill_count: 0
    .wavefront_size: 64
  - .agpr_count:     0
    .args:
      - .address_space:  global
        .offset:         0
        .size:           8
        .value_kind:     global_buffer
      - .address_space:  global
        .offset:         8
        .size:           8
        .value_kind:     global_buffer
    .group_segment_fixed_size: 4224
    .kernarg_segment_align: 8
    .kernarg_segment_size: 16
    .language:       OpenCL C
    .language_version:
      - 2
      - 0
    .max_flat_workgroup_size: 512
    .name:           _Z25striped_to_blocked_kernelIsiLj2106ELj9EEvPT_PT0_
    .private_segment_fixed_size: 0
    .sgpr_count:     12
    .sgpr_spill_count: 0
    .symbol:         _Z25striped_to_blocked_kernelIsiLj2106ELj9EEvPT_PT0_.kd
    .uniform_work_group_size: 1
    .uses_dynamic_stack: false
    .vgpr_count:     14
    .vgpr_spill_count: 0
    .wavefront_size: 64
  - .agpr_count:     0
    .args:
      - .address_space:  global
        .offset:         0
        .size:           8
        .value_kind:     global_buffer
      - .address_space:  global
        .offset:         8
        .size:           8
        .value_kind:     global_buffer
    .group_segment_fixed_size: 608
    .kernarg_segment_align: 8
    .kernarg_segment_size: 16
    .language:       OpenCL C
    .language_version:
      - 2
      - 0
    .max_flat_workgroup_size: 512
    .name:           _Z25striped_to_blocked_kernelItjLj300ELj3EEvPT_PT0_
    .private_segment_fixed_size: 0
    .sgpr_count:     12
    .sgpr_spill_count: 0
    .symbol:         _Z25striped_to_blocked_kernelItjLj300ELj3EEvPT_PT0_.kd
    .uniform_work_group_size: 1
    .uses_dynamic_stack: false
    .vgpr_count:     6
    .vgpr_spill_count: 0
    .wavefront_size: 64
  - .agpr_count:     0
    .args:
      - .address_space:  global
        .offset:         0
        .size:           8
        .value_kind:     global_buffer
      - .address_space:  global
        .offset:         8
        .size:           8
        .value_kind:     global_buffer
    .group_segment_fixed_size: 960
    .kernarg_segment_align: 8
    .kernarg_segment_size: 16
    .language:       OpenCL C
    .language_version:
      - 2
      - 0
    .max_flat_workgroup_size: 512
    .name:           _Z25striped_to_blocked_kernelIc5dummyIdELj928ELj2EEvPT_PT0_
    .private_segment_fixed_size: 0
    .sgpr_count:     11
    .sgpr_spill_count: 0
    .symbol:         _Z25striped_to_blocked_kernelIc5dummyIdELj928ELj2EEvPT_PT0_.kd
    .uniform_work_group_size: 1
    .uses_dynamic_stack: false
    .vgpr_count:     9
    .vgpr_spill_count: 0
    .wavefront_size: 64
  - .agpr_count:     0
    .args:
      - .address_space:  global
        .offset:         0
        .size:           8
        .value_kind:     global_buffer
      - .address_space:  global
        .offset:         8
        .size:           8
        .value_kind:     global_buffer
    .group_segment_fixed_size: 672
    .kernarg_segment_align: 8
    .kernarg_segment_size: 16
    .language:       OpenCL C
    .language_version:
      - 2
      - 0
    .max_flat_workgroup_size: 512
    .name:           _Z25striped_to_blocked_kernelIfiLj165ELj5EEvPT_PT0_
    .private_segment_fixed_size: 0
    .sgpr_count:     11
    .sgpr_spill_count: 0
    .symbol:         _Z25striped_to_blocked_kernelIfiLj165ELj5EEvPT_PT0_.kd
    .uniform_work_group_size: 1
    .uses_dynamic_stack: false
    .vgpr_count:     7
    .vgpr_spill_count: 0
    .wavefront_size: 64
  - .agpr_count:     0
    .args:
      - .address_space:  global
        .offset:         0
        .size:           8
        .value_kind:     global_buffer
      - .address_space:  global
        .offset:         8
        .size:           8
        .value_kind:     global_buffer
    .group_segment_fixed_size: 672
    .kernarg_segment_align: 8
    .kernarg_segment_size: 16
    .language:       OpenCL C
    .language_version:
      - 2
      - 0
    .max_flat_workgroup_size: 512
    .name:           _Z25striped_to_blocked_kernelIidLj165ELj5EEvPT_PT0_
    .private_segment_fixed_size: 0
    .sgpr_count:     12
    .sgpr_spill_count: 0
    .symbol:         _Z25striped_to_blocked_kernelIidLj165ELj5EEvPT_PT0_.kd
    .uniform_work_group_size: 1
    .uses_dynamic_stack: false
    .vgpr_count:     11
    .vgpr_spill_count: 0
    .wavefront_size: 64
  - .agpr_count:     0
    .args:
      - .address_space:  global
        .offset:         0
        .size:           8
        .value_kind:     global_buffer
      - .address_space:  global
        .offset:         8
        .size:           8
        .value_kind:     global_buffer
    .group_segment_fixed_size: 1536
    .kernarg_segment_align: 8
    .kernarg_segment_size: 16
    .language:       OpenCL C
    .language_version:
      - 2
      - 0
    .max_flat_workgroup_size: 512
    .name:           _Z25striped_to_blocked_kernelIyyLj192ELj3EEvPT_PT0_
    .private_segment_fixed_size: 0
    .sgpr_count:     11
    .sgpr_spill_count: 0
    .symbol:         _Z25striped_to_blocked_kernelIyyLj192ELj3EEvPT_PT0_.kd
    .uniform_work_group_size: 1
    .uses_dynamic_stack: false
    .vgpr_count:     9
    .vgpr_spill_count: 0
    .wavefront_size: 64
  - .agpr_count:     0
    .args:
      - .address_space:  global
        .offset:         0
        .size:           8
        .value_kind:     global_buffer
      - .address_space:  global
        .offset:         8
        .size:           8
        .value_kind:     global_buffer
    .group_segment_fixed_size: 1536
    .kernarg_segment_align: 8
    .kernarg_segment_size: 16
    .language:       OpenCL C
    .language_version:
      - 2
      - 0
    .max_flat_workgroup_size: 512
    .name:           _Z25striped_to_blocked_kernelIiiLj384ELj3EEvPT_PT0_
    .private_segment_fixed_size: 0
    .sgpr_count:     11
    .sgpr_spill_count: 0
    .symbol:         _Z25striped_to_blocked_kernelIiiLj384ELj3EEvPT_PT0_.kd
    .uniform_work_group_size: 1
    .uses_dynamic_stack: false
    .vgpr_count:     6
    .vgpr_spill_count: 0
    .wavefront_size: 64
  - .agpr_count:     0
    .args:
      - .address_space:  global
        .offset:         0
        .size:           8
        .value_kind:     global_buffer
      - .address_space:  global
        .offset:         8
        .size:           8
        .value_kind:     global_buffer
    .group_segment_fixed_size: 1792
    .kernarg_segment_align: 8
    .kernarg_segment_size: 16
    .language:       OpenCL C
    .language_version:
      - 2
      - 0
    .max_flat_workgroup_size: 512
    .name:           _Z25striped_to_blocked_kernelIs5dummyIfELj896ELj7EEvPT_PT0_
    .private_segment_fixed_size: 0
    .sgpr_count:     12
    .sgpr_spill_count: 0
    .symbol:         _Z25striped_to_blocked_kernelIs5dummyIfELj896ELj7EEvPT_PT0_.kd
    .uniform_work_group_size: 1
    .uses_dynamic_stack: false
    .vgpr_count:     20
    .vgpr_spill_count: 0
    .wavefront_size: 64
  - .agpr_count:     0
    .args:
      - .address_space:  global
        .offset:         0
        .size:           8
        .value_kind:     global_buffer
      - .address_space:  global
        .offset:         8
        .size:           8
        .value_kind:     global_buffer
    .group_segment_fixed_size: 10240
    .kernarg_segment_align: 8
    .kernarg_segment_size: 16
    .language:       OpenCL C
    .language_version:
      - 2
      - 0
    .max_flat_workgroup_size: 512
    .name:           _Z25striped_to_blocked_kernelIiiLj2560ELj5EEvPT_PT0_
    .private_segment_fixed_size: 0
    .sgpr_count:     11
    .sgpr_spill_count: 0
    .symbol:         _Z25striped_to_blocked_kernelIiiLj2560ELj5EEvPT_PT0_.kd
    .uniform_work_group_size: 1
    .uses_dynamic_stack: false
    .vgpr_count:     7
    .vgpr_spill_count: 0
    .wavefront_size: 64
  - .agpr_count:     0
    .args:
      - .address_space:  global
        .offset:         0
        .size:           8
        .value_kind:     global_buffer
      - .address_space:  global
        .offset:         8
        .size:           8
        .value_kind:     global_buffer
    .group_segment_fixed_size: 8448
    .kernarg_segment_align: 8
    .kernarg_segment_size: 16
    .language:       OpenCL C
    .language_version:
      - 2
      - 0
    .max_flat_workgroup_size: 512
    .name:           _Z25striped_to_blocked_kernelIxxLj1024ELj4EEvPT_PT0_
    .private_segment_fixed_size: 0
    .sgpr_count:     11
    .sgpr_spill_count: 0
    .symbol:         _Z25striped_to_blocked_kernelIxxLj1024ELj4EEvPT_PT0_.kd
    .uniform_work_group_size: 1
    .uses_dynamic_stack: false
    .vgpr_count:     16
    .vgpr_spill_count: 0
    .wavefront_size: 64
  - .agpr_count:     0
    .args:
      - .address_space:  global
        .offset:         0
        .size:           8
        .value_kind:     global_buffer
      - .address_space:  global
        .offset:         8
        .size:           8
        .value_kind:     global_buffer
    .group_segment_fixed_size: 528
    .kernarg_segment_align: 8
    .kernarg_segment_size: 16
    .language:       OpenCL C
    .language_version:
      - 2
      - 0
    .max_flat_workgroup_size: 512
    .name:           _Z25striped_to_blocked_kernelIiiLj128ELj2EEvPT_PT0_
    .private_segment_fixed_size: 0
    .sgpr_count:     11
    .sgpr_spill_count: 0
    .symbol:         _Z25striped_to_blocked_kernelIiiLj128ELj2EEvPT_PT0_.kd
    .uniform_work_group_size: 1
    .uses_dynamic_stack: false
    .vgpr_count:     8
    .vgpr_spill_count: 0
    .wavefront_size: 64
  - .agpr_count:     0
    .args:
      - .address_space:  global
        .offset:         0
        .size:           8
        .value_kind:     global_buffer
      - .address_space:  global
        .offset:         8
        .size:           8
        .value_kind:     global_buffer
    .group_segment_fixed_size: 4096
    .kernarg_segment_align: 8
    .kernarg_segment_size: 16
    .language:       OpenCL C
    .language_version:
      - 2
      - 0
    .max_flat_workgroup_size: 512
    .name:           _Z25striped_to_blocked_kernelIxxLj512ELj1EEvPT_PT0_
    .private_segment_fixed_size: 0
    .sgpr_count:     11
    .sgpr_spill_count: 0
    .symbol:         _Z25striped_to_blocked_kernelIxxLj512ELj1EEvPT_PT0_.kd
    .uniform_work_group_size: 1
    .uses_dynamic_stack: false
    .vgpr_count:     3
    .vgpr_spill_count: 0
    .wavefront_size: 64
  - .agpr_count:     0
    .args:
      - .address_space:  global
        .offset:         0
        .size:           8
        .value_kind:     global_buffer
      - .address_space:  global
        .offset:         8
        .size:           8
        .value_kind:     global_buffer
    .group_segment_fixed_size: 512
    .kernarg_segment_align: 8
    .kernarg_segment_size: 16
    .language:       OpenCL C
    .language_version:
      - 2
      - 0
    .max_flat_workgroup_size: 512
    .name:           _Z25striped_to_blocked_kernelIs5dummyIiELj256ELj1EEvPT_PT0_
    .private_segment_fixed_size: 0
    .sgpr_count:     12
    .sgpr_spill_count: 0
    .symbol:         _Z25striped_to_blocked_kernelIs5dummyIiELj256ELj1EEvPT_PT0_.kd
    .uniform_work_group_size: 1
    .uses_dynamic_stack: false
    .vgpr_count:     4
    .vgpr_spill_count: 0
    .wavefront_size: 64
  - .agpr_count:     0
    .args:
      - .address_space:  global
        .offset:         0
        .size:           8
        .value_kind:     global_buffer
      - .address_space:  global
        .offset:         8
        .size:           8
        .value_kind:     global_buffer
    .group_segment_fixed_size: 1024
    .kernarg_segment_align: 8
    .kernarg_segment_size: 16
    .language:       OpenCL C
    .language_version:
      - 2
      - 0
    .max_flat_workgroup_size: 512
    .name:           _Z25striped_to_blocked_kernelIyyLj128ELj1EEvPT_PT0_
    .private_segment_fixed_size: 0
    .sgpr_count:     11
    .sgpr_spill_count: 0
    .symbol:         _Z25striped_to_blocked_kernelIyyLj128ELj1EEvPT_PT0_.kd
    .uniform_work_group_size: 1
    .uses_dynamic_stack: false
    .vgpr_count:     3
    .vgpr_spill_count: 0
    .wavefront_size: 64
  - .agpr_count:     0
    .args:
      - .address_space:  global
        .offset:         0
        .size:           8
        .value_kind:     global_buffer
      - .address_space:  global
        .offset:         8
        .size:           8
        .value_kind:     global_buffer
    .group_segment_fixed_size: 256
    .kernarg_segment_align: 8
    .kernarg_segment_size: 16
    .language:       OpenCL C
    .language_version:
      - 2
      - 0
    .max_flat_workgroup_size: 512
    .name:           _Z25striped_to_blocked_kernelIixLj64ELj1EEvPT_PT0_
    .private_segment_fixed_size: 0
    .sgpr_count:     12
    .sgpr_spill_count: 0
    .symbol:         _Z25striped_to_blocked_kernelIixLj64ELj1EEvPT_PT0_.kd
    .uniform_work_group_size: 1
    .uses_dynamic_stack: false
    .vgpr_count:     4
    .vgpr_spill_count: 0
    .wavefront_size: 64
  - .agpr_count:     0
    .args:
      - .address_space:  global
        .offset:         0
        .size:           8
        .value_kind:     global_buffer
      - .address_space:  global
        .offset:         8
        .size:           8
        .value_kind:     global_buffer
    .group_segment_fixed_size: 1056
    .kernarg_segment_align: 8
    .kernarg_segment_size: 16
    .language:       OpenCL C
    .language_version:
      - 2
      - 0
    .max_flat_workgroup_size: 512
    .name:           _Z25striped_to_blocked_kernelI6__halfS0_Lj512ELj4EEvPT_PT0_
    .private_segment_fixed_size: 0
    .sgpr_count:     11
    .sgpr_spill_count: 0
    .symbol:         _Z25striped_to_blocked_kernelI6__halfS0_Lj512ELj4EEvPT_PT0_.kd
    .uniform_work_group_size: 1
    .uses_dynamic_stack: false
    .vgpr_count:     10
    .vgpr_spill_count: 0
    .wavefront_size: 64
  - .agpr_count:     0
    .args:
      - .address_space:  global
        .offset:         0
        .size:           8
        .value_kind:     global_buffer
      - .address_space:  global
        .offset:         8
        .size:           8
        .value_kind:     global_buffer
    .group_segment_fixed_size: 1056
    .kernarg_segment_align: 8
    .kernarg_segment_size: 16
    .language:       OpenCL C
    .language_version:
      - 2
      - 0
    .max_flat_workgroup_size: 512
    .name:           _Z25striped_to_blocked_kernelI12hip_bfloat16S0_Lj512ELj4EEvPT_PT0_
    .private_segment_fixed_size: 0
    .sgpr_count:     11
    .sgpr_spill_count: 0
    .symbol:         _Z25striped_to_blocked_kernelI12hip_bfloat16S0_Lj512ELj4EEvPT_PT0_.kd
    .uniform_work_group_size: 1
    .uses_dynamic_stack: false
    .vgpr_count:     10
    .vgpr_spill_count: 0
    .wavefront_size: 64
  - .agpr_count:     0
    .args:
      - .address_space:  global
        .offset:         0
        .size:           8
        .value_kind:     global_buffer
      - .address_space:  global
        .offset:         8
        .size:           8
        .value_kind:     global_buffer
    .group_segment_fixed_size: 2112
    .kernarg_segment_align: 8
    .kernarg_segment_size: 16
    .language:       OpenCL C
    .language_version:
      - 2
      - 0
    .max_flat_workgroup_size: 512
    .name:           _Z25striped_to_blocked_kernelIfdLj512ELj4EEvPT_PT0_
    .private_segment_fixed_size: 0
    .sgpr_count:     12
    .sgpr_spill_count: 0
    .symbol:         _Z25striped_to_blocked_kernelIfdLj512ELj4EEvPT_PT0_.kd
    .uniform_work_group_size: 1
    .uses_dynamic_stack: false
    .vgpr_count:     12
    .vgpr_spill_count: 0
    .wavefront_size: 64
  - .agpr_count:     0
    .args:
      - .address_space:  global
        .offset:         0
        .size:           8
        .value_kind:     global_buffer
      - .address_space:  global
        .offset:         8
        .size:           8
        .value_kind:     global_buffer
    .group_segment_fixed_size: 2112
    .kernarg_segment_align: 8
    .kernarg_segment_size: 16
    .language:       OpenCL C
    .language_version:
      - 2
      - 0
    .max_flat_workgroup_size: 512
    .name:           _Z25striped_to_blocked_kernelIiiLj512ELj4EEvPT_PT0_
    .private_segment_fixed_size: 0
    .sgpr_count:     11
    .sgpr_spill_count: 0
    .symbol:         _Z25striped_to_blocked_kernelIiiLj512ELj4EEvPT_PT0_.kd
    .uniform_work_group_size: 1
    .uses_dynamic_stack: false
    .vgpr_count:     12
    .vgpr_spill_count: 0
    .wavefront_size: 64
  - .agpr_count:     0
    .args:
      - .address_space:  global
        .offset:         0
        .size:           8
        .value_kind:     global_buffer
      - .address_space:  global
        .offset:         8
        .size:           8
        .value_kind:     global_buffer
    .group_segment_fixed_size: 4224
    .kernarg_segment_align: 8
    .kernarg_segment_size: 16
    .language:       OpenCL C
    .language_version:
      - 2
      - 0
    .max_flat_workgroup_size: 512
    .name:           _Z30blocked_to_warp_striped_kernelIsiLj2106ELj9EEvPT_PT0_
    .private_segment_fixed_size: 0
    .sgpr_count:     12
    .sgpr_spill_count: 0
    .symbol:         _Z30blocked_to_warp_striped_kernelIsiLj2106ELj9EEvPT_PT0_.kd
    .uniform_work_group_size: 1
    .uses_dynamic_stack: false
    .vgpr_count:     17
    .vgpr_spill_count: 0
    .wavefront_size: 64
  - .agpr_count:     0
    .args:
      - .address_space:  global
        .offset:         0
        .size:           8
        .value_kind:     global_buffer
      - .address_space:  global
        .offset:         8
        .size:           8
        .value_kind:     global_buffer
    .group_segment_fixed_size: 608
    .kernarg_segment_align: 8
    .kernarg_segment_size: 16
    .language:       OpenCL C
    .language_version:
      - 2
      - 0
    .max_flat_workgroup_size: 512
    .name:           _Z30blocked_to_warp_striped_kernelItjLj300ELj3EEvPT_PT0_
    .private_segment_fixed_size: 0
    .sgpr_count:     12
    .sgpr_spill_count: 0
    .symbol:         _Z30blocked_to_warp_striped_kernelItjLj300ELj3EEvPT_PT0_.kd
    .uniform_work_group_size: 1
    .uses_dynamic_stack: false
    .vgpr_count:     9
    .vgpr_spill_count: 0
    .wavefront_size: 64
  - .agpr_count:     0
    .args:
      - .address_space:  global
        .offset:         0
        .size:           8
        .value_kind:     global_buffer
      - .address_space:  global
        .offset:         8
        .size:           8
        .value_kind:     global_buffer
    .group_segment_fixed_size: 960
    .kernarg_segment_align: 8
    .kernarg_segment_size: 16
    .language:       OpenCL C
    .language_version:
      - 2
      - 0
    .max_flat_workgroup_size: 512
    .name:           _Z30blocked_to_warp_striped_kernelIc5dummyIdELj928ELj2EEvPT_PT0_
    .private_segment_fixed_size: 0
    .sgpr_count:     11
    .sgpr_spill_count: 0
    .symbol:         _Z30blocked_to_warp_striped_kernelIc5dummyIdELj928ELj2EEvPT_PT0_.kd
    .uniform_work_group_size: 1
    .uses_dynamic_stack: false
    .vgpr_count:     9
    .vgpr_spill_count: 0
    .wavefront_size: 64
  - .agpr_count:     0
    .args:
      - .address_space:  global
        .offset:         0
        .size:           8
        .value_kind:     global_buffer
      - .address_space:  global
        .offset:         8
        .size:           8
        .value_kind:     global_buffer
    .group_segment_fixed_size: 672
    .kernarg_segment_align: 8
    .kernarg_segment_size: 16
    .language:       OpenCL C
    .language_version:
      - 2
      - 0
    .max_flat_workgroup_size: 512
    .name:           _Z30blocked_to_warp_striped_kernelIfiLj165ELj5EEvPT_PT0_
    .private_segment_fixed_size: 0
    .sgpr_count:     11
    .sgpr_spill_count: 0
    .symbol:         _Z30blocked_to_warp_striped_kernelIfiLj165ELj5EEvPT_PT0_.kd
    .uniform_work_group_size: 1
    .uses_dynamic_stack: false
    .vgpr_count:     12
    .vgpr_spill_count: 0
    .wavefront_size: 64
  - .agpr_count:     0
    .args:
      - .address_space:  global
        .offset:         0
        .size:           8
        .value_kind:     global_buffer
      - .address_space:  global
        .offset:         8
        .size:           8
        .value_kind:     global_buffer
    .group_segment_fixed_size: 672
    .kernarg_segment_align: 8
    .kernarg_segment_size: 16
    .language:       OpenCL C
    .language_version:
      - 2
      - 0
    .max_flat_workgroup_size: 512
    .name:           _Z30blocked_to_warp_striped_kernelIidLj165ELj5EEvPT_PT0_
    .private_segment_fixed_size: 0
    .sgpr_count:     12
    .sgpr_spill_count: 0
    .symbol:         _Z30blocked_to_warp_striped_kernelIidLj165ELj5EEvPT_PT0_.kd
    .uniform_work_group_size: 1
    .uses_dynamic_stack: false
    .vgpr_count:     12
    .vgpr_spill_count: 0
    .wavefront_size: 64
  - .agpr_count:     0
    .args:
      - .address_space:  global
        .offset:         0
        .size:           8
        .value_kind:     global_buffer
      - .address_space:  global
        .offset:         8
        .size:           8
        .value_kind:     global_buffer
    .group_segment_fixed_size: 1536
    .kernarg_segment_align: 8
    .kernarg_segment_size: 16
    .language:       OpenCL C
    .language_version:
      - 2
      - 0
    .max_flat_workgroup_size: 512
    .name:           _Z30blocked_to_warp_striped_kernelIyyLj192ELj3EEvPT_PT0_
    .private_segment_fixed_size: 0
    .sgpr_count:     11
    .sgpr_spill_count: 0
    .symbol:         _Z30blocked_to_warp_striped_kernelIyyLj192ELj3EEvPT_PT0_.kd
    .uniform_work_group_size: 1
    .uses_dynamic_stack: false
    .vgpr_count:     11
    .vgpr_spill_count: 0
    .wavefront_size: 64
  - .agpr_count:     0
    .args:
      - .address_space:  global
        .offset:         0
        .size:           8
        .value_kind:     global_buffer
      - .address_space:  global
        .offset:         8
        .size:           8
        .value_kind:     global_buffer
    .group_segment_fixed_size: 1536
    .kernarg_segment_align: 8
    .kernarg_segment_size: 16
    .language:       OpenCL C
    .language_version:
      - 2
      - 0
    .max_flat_workgroup_size: 512
    .name:           _Z30blocked_to_warp_striped_kernelIiiLj384ELj3EEvPT_PT0_
    .private_segment_fixed_size: 0
    .sgpr_count:     11
    .sgpr_spill_count: 0
    .symbol:         _Z30blocked_to_warp_striped_kernelIiiLj384ELj3EEvPT_PT0_.kd
    .uniform_work_group_size: 1
    .uses_dynamic_stack: false
    .vgpr_count:     8
    .vgpr_spill_count: 0
    .wavefront_size: 64
  - .agpr_count:     0
    .args:
      - .address_space:  global
        .offset:         0
        .size:           8
        .value_kind:     global_buffer
      - .address_space:  global
        .offset:         8
        .size:           8
        .value_kind:     global_buffer
    .group_segment_fixed_size: 1792
    .kernarg_segment_align: 8
    .kernarg_segment_size: 16
    .language:       OpenCL C
    .language_version:
      - 2
      - 0
    .max_flat_workgroup_size: 512
    .name:           _Z30blocked_to_warp_striped_kernelIs5dummyIfELj896ELj7EEvPT_PT0_
    .private_segment_fixed_size: 0
    .sgpr_count:     12
    .sgpr_spill_count: 0
    .symbol:         _Z30blocked_to_warp_striped_kernelIs5dummyIfELj896ELj7EEvPT_PT0_.kd
    .uniform_work_group_size: 1
    .uses_dynamic_stack: false
    .vgpr_count:     20
    .vgpr_spill_count: 0
    .wavefront_size: 64
  - .agpr_count:     0
    .args:
      - .address_space:  global
        .offset:         0
        .size:           8
        .value_kind:     global_buffer
      - .address_space:  global
        .offset:         8
        .size:           8
        .value_kind:     global_buffer
    .group_segment_fixed_size: 10240
    .kernarg_segment_align: 8
    .kernarg_segment_size: 16
    .language:       OpenCL C
    .language_version:
      - 2
      - 0
    .max_flat_workgroup_size: 512
    .name:           _Z30blocked_to_warp_striped_kernelIiiLj2560ELj5EEvPT_PT0_
    .private_segment_fixed_size: 0
    .sgpr_count:     11
    .sgpr_spill_count: 0
    .symbol:         _Z30blocked_to_warp_striped_kernelIiiLj2560ELj5EEvPT_PT0_.kd
    .uniform_work_group_size: 1
    .uses_dynamic_stack: false
    .vgpr_count:     9
    .vgpr_spill_count: 0
    .wavefront_size: 64
  - .agpr_count:     0
    .args:
      - .address_space:  global
        .offset:         0
        .size:           8
        .value_kind:     global_buffer
      - .address_space:  global
        .offset:         8
        .size:           8
        .value_kind:     global_buffer
    .group_segment_fixed_size: 8448
    .kernarg_segment_align: 8
    .kernarg_segment_size: 16
    .language:       OpenCL C
    .language_version:
      - 2
      - 0
    .max_flat_workgroup_size: 512
    .name:           _Z30blocked_to_warp_striped_kernelIxxLj1024ELj4EEvPT_PT0_
    .private_segment_fixed_size: 0
    .sgpr_count:     11
    .sgpr_spill_count: 0
    .symbol:         _Z30blocked_to_warp_striped_kernelIxxLj1024ELj4EEvPT_PT0_.kd
    .uniform_work_group_size: 1
    .uses_dynamic_stack: false
    .vgpr_count:     17
    .vgpr_spill_count: 0
    .wavefront_size: 64
  - .agpr_count:     0
    .args:
      - .address_space:  global
        .offset:         0
        .size:           8
        .value_kind:     global_buffer
      - .address_space:  global
        .offset:         8
        .size:           8
        .value_kind:     global_buffer
    .group_segment_fixed_size: 528
    .kernarg_segment_align: 8
    .kernarg_segment_size: 16
    .language:       OpenCL C
    .language_version:
      - 2
      - 0
    .max_flat_workgroup_size: 512
    .name:           _Z30blocked_to_warp_striped_kernelIiiLj128ELj2EEvPT_PT0_
    .private_segment_fixed_size: 0
    .sgpr_count:     11
    .sgpr_spill_count: 0
    .symbol:         _Z30blocked_to_warp_striped_kernelIiiLj128ELj2EEvPT_PT0_.kd
    .uniform_work_group_size: 1
    .uses_dynamic_stack: false
    .vgpr_count:     8
    .vgpr_spill_count: 0
    .wavefront_size: 64
  - .agpr_count:     0
    .args:
      - .address_space:  global
        .offset:         0
        .size:           8
        .value_kind:     global_buffer
      - .address_space:  global
        .offset:         8
        .size:           8
        .value_kind:     global_buffer
    .group_segment_fixed_size: 4096
    .kernarg_segment_align: 8
    .kernarg_segment_size: 16
    .language:       OpenCL C
    .language_version:
      - 2
      - 0
    .max_flat_workgroup_size: 512
    .name:           _Z30blocked_to_warp_striped_kernelIxxLj512ELj1EEvPT_PT0_
    .private_segment_fixed_size: 0
    .sgpr_count:     11
    .sgpr_spill_count: 0
    .symbol:         _Z30blocked_to_warp_striped_kernelIxxLj512ELj1EEvPT_PT0_.kd
    .uniform_work_group_size: 1
    .uses_dynamic_stack: false
    .vgpr_count:     5
    .vgpr_spill_count: 0
    .wavefront_size: 64
  - .agpr_count:     0
    .args:
      - .address_space:  global
        .offset:         0
        .size:           8
        .value_kind:     global_buffer
      - .address_space:  global
        .offset:         8
        .size:           8
        .value_kind:     global_buffer
    .group_segment_fixed_size: 512
    .kernarg_segment_align: 8
    .kernarg_segment_size: 16
    .language:       OpenCL C
    .language_version:
      - 2
      - 0
    .max_flat_workgroup_size: 512
    .name:           _Z30blocked_to_warp_striped_kernelIs5dummyIiELj256ELj1EEvPT_PT0_
    .private_segment_fixed_size: 0
    .sgpr_count:     12
    .sgpr_spill_count: 0
    .symbol:         _Z30blocked_to_warp_striped_kernelIs5dummyIiELj256ELj1EEvPT_PT0_.kd
    .uniform_work_group_size: 1
    .uses_dynamic_stack: false
    .vgpr_count:     4
    .vgpr_spill_count: 0
    .wavefront_size: 64
  - .agpr_count:     0
    .args:
      - .address_space:  global
        .offset:         0
        .size:           8
        .value_kind:     global_buffer
      - .address_space:  global
        .offset:         8
        .size:           8
        .value_kind:     global_buffer
    .group_segment_fixed_size: 1024
    .kernarg_segment_align: 8
    .kernarg_segment_size: 16
    .language:       OpenCL C
    .language_version:
      - 2
      - 0
    .max_flat_workgroup_size: 512
    .name:           _Z30blocked_to_warp_striped_kernelIyyLj128ELj1EEvPT_PT0_
    .private_segment_fixed_size: 0
    .sgpr_count:     11
    .sgpr_spill_count: 0
    .symbol:         _Z30blocked_to_warp_striped_kernelIyyLj128ELj1EEvPT_PT0_.kd
    .uniform_work_group_size: 1
    .uses_dynamic_stack: false
    .vgpr_count:     5
    .vgpr_spill_count: 0
    .wavefront_size: 64
  - .agpr_count:     0
    .args:
      - .address_space:  global
        .offset:         0
        .size:           8
        .value_kind:     global_buffer
      - .address_space:  global
        .offset:         8
        .size:           8
        .value_kind:     global_buffer
    .group_segment_fixed_size: 256
    .kernarg_segment_align: 8
    .kernarg_segment_size: 16
    .language:       OpenCL C
    .language_version:
      - 2
      - 0
    .max_flat_workgroup_size: 512
    .name:           _Z30blocked_to_warp_striped_kernelIixLj64ELj1EEvPT_PT0_
    .private_segment_fixed_size: 0
    .sgpr_count:     12
    .sgpr_spill_count: 0
    .symbol:         _Z30blocked_to_warp_striped_kernelIixLj64ELj1EEvPT_PT0_.kd
    .uniform_work_group_size: 1
    .uses_dynamic_stack: false
    .vgpr_count:     4
    .vgpr_spill_count: 0
    .wavefront_size: 64
  - .agpr_count:     0
    .args:
      - .address_space:  global
        .offset:         0
        .size:           8
        .value_kind:     global_buffer
      - .address_space:  global
        .offset:         8
        .size:           8
        .value_kind:     global_buffer
    .group_segment_fixed_size: 1056
    .kernarg_segment_align: 8
    .kernarg_segment_size: 16
    .language:       OpenCL C
    .language_version:
      - 2
      - 0
    .max_flat_workgroup_size: 512
    .name:           _Z30blocked_to_warp_striped_kernelI6__halfS0_Lj512ELj4EEvPT_PT0_
    .private_segment_fixed_size: 0
    .sgpr_count:     11
    .sgpr_spill_count: 0
    .symbol:         _Z30blocked_to_warp_striped_kernelI6__halfS0_Lj512ELj4EEvPT_PT0_.kd
    .uniform_work_group_size: 1
    .uses_dynamic_stack: false
    .vgpr_count:     13
    .vgpr_spill_count: 0
    .wavefront_size: 64
  - .agpr_count:     0
    .args:
      - .address_space:  global
        .offset:         0
        .size:           8
        .value_kind:     global_buffer
      - .address_space:  global
        .offset:         8
        .size:           8
        .value_kind:     global_buffer
    .group_segment_fixed_size: 1056
    .kernarg_segment_align: 8
    .kernarg_segment_size: 16
    .language:       OpenCL C
    .language_version:
      - 2
      - 0
    .max_flat_workgroup_size: 512
    .name:           _Z30blocked_to_warp_striped_kernelI12hip_bfloat16S0_Lj512ELj4EEvPT_PT0_
    .private_segment_fixed_size: 0
    .sgpr_count:     11
    .sgpr_spill_count: 0
    .symbol:         _Z30blocked_to_warp_striped_kernelI12hip_bfloat16S0_Lj512ELj4EEvPT_PT0_.kd
    .uniform_work_group_size: 1
    .uses_dynamic_stack: false
    .vgpr_count:     13
    .vgpr_spill_count: 0
    .wavefront_size: 64
  - .agpr_count:     0
    .args:
      - .address_space:  global
        .offset:         0
        .size:           8
        .value_kind:     global_buffer
      - .address_space:  global
        .offset:         8
        .size:           8
        .value_kind:     global_buffer
    .group_segment_fixed_size: 2112
    .kernarg_segment_align: 8
    .kernarg_segment_size: 16
    .language:       OpenCL C
    .language_version:
      - 2
      - 0
    .max_flat_workgroup_size: 512
    .name:           _Z30blocked_to_warp_striped_kernelIfdLj512ELj4EEvPT_PT0_
    .private_segment_fixed_size: 0
    .sgpr_count:     12
    .sgpr_spill_count: 0
    .symbol:         _Z30blocked_to_warp_striped_kernelIfdLj512ELj4EEvPT_PT0_.kd
    .uniform_work_group_size: 1
    .uses_dynamic_stack: false
    .vgpr_count:     13
    .vgpr_spill_count: 0
    .wavefront_size: 64
  - .agpr_count:     0
    .args:
      - .address_space:  global
        .offset:         0
        .size:           8
        .value_kind:     global_buffer
      - .address_space:  global
        .offset:         8
        .size:           8
        .value_kind:     global_buffer
    .group_segment_fixed_size: 2112
    .kernarg_segment_align: 8
    .kernarg_segment_size: 16
    .language:       OpenCL C
    .language_version:
      - 2
      - 0
    .max_flat_workgroup_size: 512
    .name:           _Z30blocked_to_warp_striped_kernelIiiLj512ELj4EEvPT_PT0_
    .private_segment_fixed_size: 0
    .sgpr_count:     11
    .sgpr_spill_count: 0
    .symbol:         _Z30blocked_to_warp_striped_kernelIiiLj512ELj4EEvPT_PT0_.kd
    .uniform_work_group_size: 1
    .uses_dynamic_stack: false
    .vgpr_count:     13
    .vgpr_spill_count: 0
    .wavefront_size: 64
  - .agpr_count:     0
    .args:
      - .address_space:  global
        .offset:         0
        .size:           8
        .value_kind:     global_buffer
      - .address_space:  global
        .offset:         8
        .size:           8
        .value_kind:     global_buffer
    .group_segment_fixed_size: 4224
    .kernarg_segment_align: 8
    .kernarg_segment_size: 16
    .language:       OpenCL C
    .language_version:
      - 2
      - 0
    .max_flat_workgroup_size: 512
    .name:           _Z30warp_striped_to_blocked_kernelIsiLj2106ELj9EEvPT_PT0_
    .private_segment_fixed_size: 0
    .sgpr_count:     12
    .sgpr_spill_count: 0
    .symbol:         _Z30warp_striped_to_blocked_kernelIsiLj2106ELj9EEvPT_PT0_.kd
    .uniform_work_group_size: 1
    .uses_dynamic_stack: false
    .vgpr_count:     16
    .vgpr_spill_count: 0
    .wavefront_size: 64
  - .agpr_count:     0
    .args:
      - .address_space:  global
        .offset:         0
        .size:           8
        .value_kind:     global_buffer
      - .address_space:  global
        .offset:         8
        .size:           8
        .value_kind:     global_buffer
    .group_segment_fixed_size: 608
    .kernarg_segment_align: 8
    .kernarg_segment_size: 16
    .language:       OpenCL C
    .language_version:
      - 2
      - 0
    .max_flat_workgroup_size: 512
    .name:           _Z30warp_striped_to_blocked_kernelItjLj300ELj3EEvPT_PT0_
    .private_segment_fixed_size: 0
    .sgpr_count:     12
    .sgpr_spill_count: 0
    .symbol:         _Z30warp_striped_to_blocked_kernelItjLj300ELj3EEvPT_PT0_.kd
    .uniform_work_group_size: 1
    .uses_dynamic_stack: false
    .vgpr_count:     8
    .vgpr_spill_count: 0
    .wavefront_size: 64
  - .agpr_count:     0
    .args:
      - .address_space:  global
        .offset:         0
        .size:           8
        .value_kind:     global_buffer
      - .address_space:  global
        .offset:         8
        .size:           8
        .value_kind:     global_buffer
    .group_segment_fixed_size: 960
    .kernarg_segment_align: 8
    .kernarg_segment_size: 16
    .language:       OpenCL C
    .language_version:
      - 2
      - 0
    .max_flat_workgroup_size: 512
    .name:           _Z30warp_striped_to_blocked_kernelIc5dummyIdELj928ELj2EEvPT_PT0_
    .private_segment_fixed_size: 0
    .sgpr_count:     11
    .sgpr_spill_count: 0
    .symbol:         _Z30warp_striped_to_blocked_kernelIc5dummyIdELj928ELj2EEvPT_PT0_.kd
    .uniform_work_group_size: 1
    .uses_dynamic_stack: false
    .vgpr_count:     9
    .vgpr_spill_count: 0
    .wavefront_size: 64
  - .agpr_count:     0
    .args:
      - .address_space:  global
        .offset:         0
        .size:           8
        .value_kind:     global_buffer
      - .address_space:  global
        .offset:         8
        .size:           8
        .value_kind:     global_buffer
    .group_segment_fixed_size: 672
    .kernarg_segment_align: 8
    .kernarg_segment_size: 16
    .language:       OpenCL C
    .language_version:
      - 2
      - 0
    .max_flat_workgroup_size: 512
    .name:           _Z30warp_striped_to_blocked_kernelIfiLj165ELj5EEvPT_PT0_
    .private_segment_fixed_size: 0
    .sgpr_count:     11
    .sgpr_spill_count: 0
    .symbol:         _Z30warp_striped_to_blocked_kernelIfiLj165ELj5EEvPT_PT0_.kd
    .uniform_work_group_size: 1
    .uses_dynamic_stack: false
    .vgpr_count:     12
    .vgpr_spill_count: 0
    .wavefront_size: 64
  - .agpr_count:     0
    .args:
      - .address_space:  global
        .offset:         0
        .size:           8
        .value_kind:     global_buffer
      - .address_space:  global
        .offset:         8
        .size:           8
        .value_kind:     global_buffer
    .group_segment_fixed_size: 672
    .kernarg_segment_align: 8
    .kernarg_segment_size: 16
    .language:       OpenCL C
    .language_version:
      - 2
      - 0
    .max_flat_workgroup_size: 512
    .name:           _Z30warp_striped_to_blocked_kernelIidLj165ELj5EEvPT_PT0_
    .private_segment_fixed_size: 0
    .sgpr_count:     12
    .sgpr_spill_count: 0
    .symbol:         _Z30warp_striped_to_blocked_kernelIidLj165ELj5EEvPT_PT0_.kd
    .uniform_work_group_size: 1
    .uses_dynamic_stack: false
    .vgpr_count:     12
    .vgpr_spill_count: 0
    .wavefront_size: 64
  - .agpr_count:     0
    .args:
      - .address_space:  global
        .offset:         0
        .size:           8
        .value_kind:     global_buffer
      - .address_space:  global
        .offset:         8
        .size:           8
        .value_kind:     global_buffer
    .group_segment_fixed_size: 1536
    .kernarg_segment_align: 8
    .kernarg_segment_size: 16
    .language:       OpenCL C
    .language_version:
      - 2
      - 0
    .max_flat_workgroup_size: 512
    .name:           _Z30warp_striped_to_blocked_kernelIyyLj192ELj3EEvPT_PT0_
    .private_segment_fixed_size: 0
    .sgpr_count:     11
    .sgpr_spill_count: 0
    .symbol:         _Z30warp_striped_to_blocked_kernelIyyLj192ELj3EEvPT_PT0_.kd
    .uniform_work_group_size: 1
    .uses_dynamic_stack: false
    .vgpr_count:     10
    .vgpr_spill_count: 0
    .wavefront_size: 64
  - .agpr_count:     0
    .args:
      - .address_space:  global
        .offset:         0
        .size:           8
        .value_kind:     global_buffer
      - .address_space:  global
        .offset:         8
        .size:           8
        .value_kind:     global_buffer
    .group_segment_fixed_size: 1536
    .kernarg_segment_align: 8
    .kernarg_segment_size: 16
    .language:       OpenCL C
    .language_version:
      - 2
      - 0
    .max_flat_workgroup_size: 512
    .name:           _Z30warp_striped_to_blocked_kernelIiiLj384ELj3EEvPT_PT0_
    .private_segment_fixed_size: 0
    .sgpr_count:     11
    .sgpr_spill_count: 0
    .symbol:         _Z30warp_striped_to_blocked_kernelIiiLj384ELj3EEvPT_PT0_.kd
    .uniform_work_group_size: 1
    .uses_dynamic_stack: false
    .vgpr_count:     7
    .vgpr_spill_count: 0
    .wavefront_size: 64
  - .agpr_count:     0
    .args:
      - .address_space:  global
        .offset:         0
        .size:           8
        .value_kind:     global_buffer
      - .address_space:  global
        .offset:         8
        .size:           8
        .value_kind:     global_buffer
    .group_segment_fixed_size: 1792
    .kernarg_segment_align: 8
    .kernarg_segment_size: 16
    .language:       OpenCL C
    .language_version:
      - 2
      - 0
    .max_flat_workgroup_size: 512
    .name:           _Z30warp_striped_to_blocked_kernelIs5dummyIfELj896ELj7EEvPT_PT0_
    .private_segment_fixed_size: 0
    .sgpr_count:     12
    .sgpr_spill_count: 0
    .symbol:         _Z30warp_striped_to_blocked_kernelIs5dummyIfELj896ELj7EEvPT_PT0_.kd
    .uniform_work_group_size: 1
    .uses_dynamic_stack: false
    .vgpr_count:     20
    .vgpr_spill_count: 0
    .wavefront_size: 64
  - .agpr_count:     0
    .args:
      - .address_space:  global
        .offset:         0
        .size:           8
        .value_kind:     global_buffer
      - .address_space:  global
        .offset:         8
        .size:           8
        .value_kind:     global_buffer
    .group_segment_fixed_size: 10240
    .kernarg_segment_align: 8
    .kernarg_segment_size: 16
    .language:       OpenCL C
    .language_version:
      - 2
      - 0
    .max_flat_workgroup_size: 512
    .name:           _Z30warp_striped_to_blocked_kernelIiiLj2560ELj5EEvPT_PT0_
    .private_segment_fixed_size: 0
    .sgpr_count:     11
    .sgpr_spill_count: 0
    .symbol:         _Z30warp_striped_to_blocked_kernelIiiLj2560ELj5EEvPT_PT0_.kd
    .uniform_work_group_size: 1
    .uses_dynamic_stack: false
    .vgpr_count:     8
    .vgpr_spill_count: 0
    .wavefront_size: 64
  - .agpr_count:     0
    .args:
      - .address_space:  global
        .offset:         0
        .size:           8
        .value_kind:     global_buffer
      - .address_space:  global
        .offset:         8
        .size:           8
        .value_kind:     global_buffer
    .group_segment_fixed_size: 8448
    .kernarg_segment_align: 8
    .kernarg_segment_size: 16
    .language:       OpenCL C
    .language_version:
      - 2
      - 0
    .max_flat_workgroup_size: 512
    .name:           _Z30warp_striped_to_blocked_kernelIxxLj1024ELj4EEvPT_PT0_
    .private_segment_fixed_size: 0
    .sgpr_count:     11
    .sgpr_spill_count: 0
    .symbol:         _Z30warp_striped_to_blocked_kernelIxxLj1024ELj4EEvPT_PT0_.kd
    .uniform_work_group_size: 1
    .uses_dynamic_stack: false
    .vgpr_count:     18
    .vgpr_spill_count: 0
    .wavefront_size: 64
  - .agpr_count:     0
    .args:
      - .address_space:  global
        .offset:         0
        .size:           8
        .value_kind:     global_buffer
      - .address_space:  global
        .offset:         8
        .size:           8
        .value_kind:     global_buffer
    .group_segment_fixed_size: 528
    .kernarg_segment_align: 8
    .kernarg_segment_size: 16
    .language:       OpenCL C
    .language_version:
      - 2
      - 0
    .max_flat_workgroup_size: 512
    .name:           _Z30warp_striped_to_blocked_kernelIiiLj128ELj2EEvPT_PT0_
    .private_segment_fixed_size: 0
    .sgpr_count:     11
    .sgpr_spill_count: 0
    .symbol:         _Z30warp_striped_to_blocked_kernelIiiLj128ELj2EEvPT_PT0_.kd
    .uniform_work_group_size: 1
    .uses_dynamic_stack: false
    .vgpr_count:     8
    .vgpr_spill_count: 0
    .wavefront_size: 64
  - .agpr_count:     0
    .args:
      - .address_space:  global
        .offset:         0
        .size:           8
        .value_kind:     global_buffer
      - .address_space:  global
        .offset:         8
        .size:           8
        .value_kind:     global_buffer
    .group_segment_fixed_size: 4096
    .kernarg_segment_align: 8
    .kernarg_segment_size: 16
    .language:       OpenCL C
    .language_version:
      - 2
      - 0
    .max_flat_workgroup_size: 512
    .name:           _Z30warp_striped_to_blocked_kernelIxxLj512ELj1EEvPT_PT0_
    .private_segment_fixed_size: 0
    .sgpr_count:     11
    .sgpr_spill_count: 0
    .symbol:         _Z30warp_striped_to_blocked_kernelIxxLj512ELj1EEvPT_PT0_.kd
    .uniform_work_group_size: 1
    .uses_dynamic_stack: false
    .vgpr_count:     5
    .vgpr_spill_count: 0
    .wavefront_size: 64
  - .agpr_count:     0
    .args:
      - .address_space:  global
        .offset:         0
        .size:           8
        .value_kind:     global_buffer
      - .address_space:  global
        .offset:         8
        .size:           8
        .value_kind:     global_buffer
    .group_segment_fixed_size: 512
    .kernarg_segment_align: 8
    .kernarg_segment_size: 16
    .language:       OpenCL C
    .language_version:
      - 2
      - 0
    .max_flat_workgroup_size: 512
    .name:           _Z30warp_striped_to_blocked_kernelIs5dummyIiELj256ELj1EEvPT_PT0_
    .private_segment_fixed_size: 0
    .sgpr_count:     12
    .sgpr_spill_count: 0
    .symbol:         _Z30warp_striped_to_blocked_kernelIs5dummyIiELj256ELj1EEvPT_PT0_.kd
    .uniform_work_group_size: 1
    .uses_dynamic_stack: false
    .vgpr_count:     4
    .vgpr_spill_count: 0
    .wavefront_size: 64
  - .agpr_count:     0
    .args:
      - .address_space:  global
        .offset:         0
        .size:           8
        .value_kind:     global_buffer
      - .address_space:  global
        .offset:         8
        .size:           8
        .value_kind:     global_buffer
    .group_segment_fixed_size: 1024
    .kernarg_segment_align: 8
    .kernarg_segment_size: 16
    .language:       OpenCL C
    .language_version:
      - 2
      - 0
    .max_flat_workgroup_size: 512
    .name:           _Z30warp_striped_to_blocked_kernelIyyLj128ELj1EEvPT_PT0_
    .private_segment_fixed_size: 0
    .sgpr_count:     11
    .sgpr_spill_count: 0
    .symbol:         _Z30warp_striped_to_blocked_kernelIyyLj128ELj1EEvPT_PT0_.kd
    .uniform_work_group_size: 1
    .uses_dynamic_stack: false
    .vgpr_count:     5
    .vgpr_spill_count: 0
    .wavefront_size: 64
  - .agpr_count:     0
    .args:
      - .address_space:  global
        .offset:         0
        .size:           8
        .value_kind:     global_buffer
      - .address_space:  global
        .offset:         8
        .size:           8
        .value_kind:     global_buffer
    .group_segment_fixed_size: 256
    .kernarg_segment_align: 8
    .kernarg_segment_size: 16
    .language:       OpenCL C
    .language_version:
      - 2
      - 0
    .max_flat_workgroup_size: 512
    .name:           _Z30warp_striped_to_blocked_kernelIixLj64ELj1EEvPT_PT0_
    .private_segment_fixed_size: 0
    .sgpr_count:     12
    .sgpr_spill_count: 0
    .symbol:         _Z30warp_striped_to_blocked_kernelIixLj64ELj1EEvPT_PT0_.kd
    .uniform_work_group_size: 1
    .uses_dynamic_stack: false
    .vgpr_count:     4
    .vgpr_spill_count: 0
    .wavefront_size: 64
  - .agpr_count:     0
    .args:
      - .address_space:  global
        .offset:         0
        .size:           8
        .value_kind:     global_buffer
      - .address_space:  global
        .offset:         8
        .size:           8
        .value_kind:     global_buffer
    .group_segment_fixed_size: 1056
    .kernarg_segment_align: 8
    .kernarg_segment_size: 16
    .language:       OpenCL C
    .language_version:
      - 2
      - 0
    .max_flat_workgroup_size: 512
    .name:           _Z30warp_striped_to_blocked_kernelI6__halfS0_Lj512ELj4EEvPT_PT0_
    .private_segment_fixed_size: 0
    .sgpr_count:     11
    .sgpr_spill_count: 0
    .symbol:         _Z30warp_striped_to_blocked_kernelI6__halfS0_Lj512ELj4EEvPT_PT0_.kd
    .uniform_work_group_size: 1
    .uses_dynamic_stack: false
    .vgpr_count:     13
    .vgpr_spill_count: 0
    .wavefront_size: 64
  - .agpr_count:     0
    .args:
      - .address_space:  global
        .offset:         0
        .size:           8
        .value_kind:     global_buffer
      - .address_space:  global
        .offset:         8
        .size:           8
        .value_kind:     global_buffer
    .group_segment_fixed_size: 1056
    .kernarg_segment_align: 8
    .kernarg_segment_size: 16
    .language:       OpenCL C
    .language_version:
      - 2
      - 0
    .max_flat_workgroup_size: 512
    .name:           _Z30warp_striped_to_blocked_kernelI12hip_bfloat16S0_Lj512ELj4EEvPT_PT0_
    .private_segment_fixed_size: 0
    .sgpr_count:     11
    .sgpr_spill_count: 0
    .symbol:         _Z30warp_striped_to_blocked_kernelI12hip_bfloat16S0_Lj512ELj4EEvPT_PT0_.kd
    .uniform_work_group_size: 1
    .uses_dynamic_stack: false
    .vgpr_count:     13
    .vgpr_spill_count: 0
    .wavefront_size: 64
  - .agpr_count:     0
    .args:
      - .address_space:  global
        .offset:         0
        .size:           8
        .value_kind:     global_buffer
      - .address_space:  global
        .offset:         8
        .size:           8
        .value_kind:     global_buffer
    .group_segment_fixed_size: 2112
    .kernarg_segment_align: 8
    .kernarg_segment_size: 16
    .language:       OpenCL C
    .language_version:
      - 2
      - 0
    .max_flat_workgroup_size: 512
    .name:           _Z30warp_striped_to_blocked_kernelIfdLj512ELj4EEvPT_PT0_
    .private_segment_fixed_size: 0
    .sgpr_count:     12
    .sgpr_spill_count: 0
    .symbol:         _Z30warp_striped_to_blocked_kernelIfdLj512ELj4EEvPT_PT0_.kd
    .uniform_work_group_size: 1
    .uses_dynamic_stack: false
    .vgpr_count:     14
    .vgpr_spill_count: 0
    .wavefront_size: 64
  - .agpr_count:     0
    .args:
      - .address_space:  global
        .offset:         0
        .size:           8
        .value_kind:     global_buffer
      - .address_space:  global
        .offset:         8
        .size:           8
        .value_kind:     global_buffer
    .group_segment_fixed_size: 2112
    .kernarg_segment_align: 8
    .kernarg_segment_size: 16
    .language:       OpenCL C
    .language_version:
      - 2
      - 0
    .max_flat_workgroup_size: 512
    .name:           _Z30warp_striped_to_blocked_kernelIiiLj512ELj4EEvPT_PT0_
    .private_segment_fixed_size: 0
    .sgpr_count:     11
    .sgpr_spill_count: 0
    .symbol:         _Z30warp_striped_to_blocked_kernelIiiLj512ELj4EEvPT_PT0_.kd
    .uniform_work_group_size: 1
    .uses_dynamic_stack: false
    .vgpr_count:     14
    .vgpr_spill_count: 0
    .wavefront_size: 64
  - .agpr_count:     0
    .args:
      - .address_space:  global
        .offset:         0
        .size:           8
        .value_kind:     global_buffer
      - .address_space:  global
        .offset:         8
        .size:           8
        .value_kind:     global_buffer
      - .address_space:  global
        .offset:         16
        .size:           8
        .value_kind:     global_buffer
    .group_segment_fixed_size: 4224
    .kernarg_segment_align: 8
    .kernarg_segment_size: 24
    .language:       OpenCL C
    .language_version:
      - 2
      - 0
    .max_flat_workgroup_size: 512
    .name:           _Z25scatter_to_blocked_kernelIsiLj2106ELj9EEvPT_PT0_Pj
    .private_segment_fixed_size: 0
    .sgpr_count:     14
    .sgpr_spill_count: 0
    .symbol:         _Z25scatter_to_blocked_kernelIsiLj2106ELj9EEvPT_PT0_Pj.kd
    .uniform_work_group_size: 1
    .uses_dynamic_stack: false
    .vgpr_count:     16
    .vgpr_spill_count: 0
    .wavefront_size: 64
  - .agpr_count:     0
    .args:
      - .address_space:  global
        .offset:         0
        .size:           8
        .value_kind:     global_buffer
      - .address_space:  global
        .offset:         8
        .size:           8
        .value_kind:     global_buffer
      - .address_space:  global
        .offset:         16
        .size:           8
        .value_kind:     global_buffer
    .group_segment_fixed_size: 608
    .kernarg_segment_align: 8
    .kernarg_segment_size: 24
    .language:       OpenCL C
    .language_version:
      - 2
      - 0
    .max_flat_workgroup_size: 512
    .name:           _Z25scatter_to_blocked_kernelItjLj300ELj3EEvPT_PT0_Pj
    .private_segment_fixed_size: 0
    .sgpr_count:     14
    .sgpr_spill_count: 0
    .symbol:         _Z25scatter_to_blocked_kernelItjLj300ELj3EEvPT_PT0_Pj.kd
    .uniform_work_group_size: 1
    .uses_dynamic_stack: false
    .vgpr_count:     7
    .vgpr_spill_count: 0
    .wavefront_size: 64
  - .agpr_count:     0
    .args:
      - .address_space:  global
        .offset:         0
        .size:           8
        .value_kind:     global_buffer
      - .address_space:  global
        .offset:         8
        .size:           8
        .value_kind:     global_buffer
      - .address_space:  global
        .offset:         16
        .size:           8
        .value_kind:     global_buffer
    .group_segment_fixed_size: 960
    .kernarg_segment_align: 8
    .kernarg_segment_size: 24
    .language:       OpenCL C
    .language_version:
      - 2
      - 0
    .max_flat_workgroup_size: 512
    .name:           _Z25scatter_to_blocked_kernelIc5dummyIdELj928ELj2EEvPT_PT0_Pj
    .private_segment_fixed_size: 0
    .sgpr_count:     14
    .sgpr_spill_count: 0
    .symbol:         _Z25scatter_to_blocked_kernelIc5dummyIdELj928ELj2EEvPT_PT0_Pj.kd
    .uniform_work_group_size: 1
    .uses_dynamic_stack: false
    .vgpr_count:     9
    .vgpr_spill_count: 0
    .wavefront_size: 64
  - .agpr_count:     0
    .args:
      - .address_space:  global
        .offset:         0
        .size:           8
        .value_kind:     global_buffer
      - .address_space:  global
        .offset:         8
        .size:           8
        .value_kind:     global_buffer
      - .address_space:  global
        .offset:         16
        .size:           8
        .value_kind:     global_buffer
    .group_segment_fixed_size: 672
    .kernarg_segment_align: 8
    .kernarg_segment_size: 24
    .language:       OpenCL C
    .language_version:
      - 2
      - 0
    .max_flat_workgroup_size: 512
    .name:           _Z25scatter_to_blocked_kernelIfiLj165ELj5EEvPT_PT0_Pj
    .private_segment_fixed_size: 0
    .sgpr_count:     14
    .sgpr_spill_count: 0
    .symbol:         _Z25scatter_to_blocked_kernelIfiLj165ELj5EEvPT_PT0_Pj.kd
    .uniform_work_group_size: 1
    .uses_dynamic_stack: false
    .vgpr_count:     11
    .vgpr_spill_count: 0
    .wavefront_size: 64
  - .agpr_count:     0
    .args:
      - .address_space:  global
        .offset:         0
        .size:           8
        .value_kind:     global_buffer
      - .address_space:  global
        .offset:         8
        .size:           8
        .value_kind:     global_buffer
      - .address_space:  global
        .offset:         16
        .size:           8
        .value_kind:     global_buffer
    .group_segment_fixed_size: 672
    .kernarg_segment_align: 8
    .kernarg_segment_size: 24
    .language:       OpenCL C
    .language_version:
      - 2
      - 0
    .max_flat_workgroup_size: 512
    .name:           _Z25scatter_to_blocked_kernelIidLj165ELj5EEvPT_PT0_Pj
    .private_segment_fixed_size: 0
    .sgpr_count:     14
    .sgpr_spill_count: 0
    .symbol:         _Z25scatter_to_blocked_kernelIidLj165ELj5EEvPT_PT0_Pj.kd
    .uniform_work_group_size: 1
    .uses_dynamic_stack: false
    .vgpr_count:     13
    .vgpr_spill_count: 0
    .wavefront_size: 64
  - .agpr_count:     0
    .args:
      - .address_space:  global
        .offset:         0
        .size:           8
        .value_kind:     global_buffer
      - .address_space:  global
        .offset:         8
        .size:           8
        .value_kind:     global_buffer
      - .address_space:  global
        .offset:         16
        .size:           8
        .value_kind:     global_buffer
    .group_segment_fixed_size: 1536
    .kernarg_segment_align: 8
    .kernarg_segment_size: 24
    .language:       OpenCL C
    .language_version:
      - 2
      - 0
    .max_flat_workgroup_size: 512
    .name:           _Z25scatter_to_blocked_kernelIyyLj192ELj3EEvPT_PT0_Pj
    .private_segment_fixed_size: 0
    .sgpr_count:     14
    .sgpr_spill_count: 0
    .symbol:         _Z25scatter_to_blocked_kernelIyyLj192ELj3EEvPT_PT0_Pj.kd
    .uniform_work_group_size: 1
    .uses_dynamic_stack: false
    .vgpr_count:     10
    .vgpr_spill_count: 0
    .wavefront_size: 64
  - .agpr_count:     0
    .args:
      - .address_space:  global
        .offset:         0
        .size:           8
        .value_kind:     global_buffer
      - .address_space:  global
        .offset:         8
        .size:           8
        .value_kind:     global_buffer
      - .address_space:  global
        .offset:         16
        .size:           8
        .value_kind:     global_buffer
    .group_segment_fixed_size: 1536
    .kernarg_segment_align: 8
    .kernarg_segment_size: 24
    .language:       OpenCL C
    .language_version:
      - 2
      - 0
    .max_flat_workgroup_size: 512
    .name:           _Z25scatter_to_blocked_kernelIiiLj384ELj3EEvPT_PT0_Pj
    .private_segment_fixed_size: 0
    .sgpr_count:     14
    .sgpr_spill_count: 0
    .symbol:         _Z25scatter_to_blocked_kernelIiiLj384ELj3EEvPT_PT0_Pj.kd
    .uniform_work_group_size: 1
    .uses_dynamic_stack: false
    .vgpr_count:     7
    .vgpr_spill_count: 0
    .wavefront_size: 64
  - .agpr_count:     0
    .args:
      - .address_space:  global
        .offset:         0
        .size:           8
        .value_kind:     global_buffer
      - .address_space:  global
        .offset:         8
        .size:           8
        .value_kind:     global_buffer
      - .address_space:  global
        .offset:         16
        .size:           8
        .value_kind:     global_buffer
    .group_segment_fixed_size: 1792
    .kernarg_segment_align: 8
    .kernarg_segment_size: 24
    .language:       OpenCL C
    .language_version:
      - 2
      - 0
    .max_flat_workgroup_size: 512
    .name:           _Z25scatter_to_blocked_kernelIs5dummyIfELj896ELj7EEvPT_PT0_Pj
    .private_segment_fixed_size: 0
    .sgpr_count:     14
    .sgpr_spill_count: 0
    .symbol:         _Z25scatter_to_blocked_kernelIs5dummyIfELj896ELj7EEvPT_PT0_Pj.kd
    .uniform_work_group_size: 1
    .uses_dynamic_stack: false
    .vgpr_count:     19
    .vgpr_spill_count: 0
    .wavefront_size: 64
  - .agpr_count:     0
    .args:
      - .address_space:  global
        .offset:         0
        .size:           8
        .value_kind:     global_buffer
      - .address_space:  global
        .offset:         8
        .size:           8
        .value_kind:     global_buffer
      - .address_space:  global
        .offset:         16
        .size:           8
        .value_kind:     global_buffer
    .group_segment_fixed_size: 10240
    .kernarg_segment_align: 8
    .kernarg_segment_size: 24
    .language:       OpenCL C
    .language_version:
      - 2
      - 0
    .max_flat_workgroup_size: 512
    .name:           _Z25scatter_to_blocked_kernelIiiLj2560ELj5EEvPT_PT0_Pj
    .private_segment_fixed_size: 0
    .sgpr_count:     14
    .sgpr_spill_count: 0
    .symbol:         _Z25scatter_to_blocked_kernelIiiLj2560ELj5EEvPT_PT0_Pj.kd
    .uniform_work_group_size: 1
    .uses_dynamic_stack: false
    .vgpr_count:     11
    .vgpr_spill_count: 0
    .wavefront_size: 64
  - .agpr_count:     0
    .args:
      - .address_space:  global
        .offset:         0
        .size:           8
        .value_kind:     global_buffer
      - .address_space:  global
        .offset:         8
        .size:           8
        .value_kind:     global_buffer
      - .address_space:  global
        .offset:         16
        .size:           8
        .value_kind:     global_buffer
    .group_segment_fixed_size: 8448
    .kernarg_segment_align: 8
    .kernarg_segment_size: 24
    .language:       OpenCL C
    .language_version:
      - 2
      - 0
    .max_flat_workgroup_size: 512
    .name:           _Z25scatter_to_blocked_kernelIxxLj1024ELj4EEvPT_PT0_Pj
    .private_segment_fixed_size: 0
    .sgpr_count:     14
    .sgpr_spill_count: 0
    .symbol:         _Z25scatter_to_blocked_kernelIxxLj1024ELj4EEvPT_PT0_Pj.kd
    .uniform_work_group_size: 1
    .uses_dynamic_stack: false
    .vgpr_count:     18
    .vgpr_spill_count: 0
    .wavefront_size: 64
  - .agpr_count:     0
    .args:
      - .address_space:  global
        .offset:         0
        .size:           8
        .value_kind:     global_buffer
      - .address_space:  global
        .offset:         8
        .size:           8
        .value_kind:     global_buffer
      - .address_space:  global
        .offset:         16
        .size:           8
        .value_kind:     global_buffer
    .group_segment_fixed_size: 528
    .kernarg_segment_align: 8
    .kernarg_segment_size: 24
    .language:       OpenCL C
    .language_version:
      - 2
      - 0
    .max_flat_workgroup_size: 512
    .name:           _Z25scatter_to_blocked_kernelIiiLj128ELj2EEvPT_PT0_Pj
    .private_segment_fixed_size: 0
    .sgpr_count:     14
    .sgpr_spill_count: 0
    .symbol:         _Z25scatter_to_blocked_kernelIiiLj128ELj2EEvPT_PT0_Pj.kd
    .uniform_work_group_size: 1
    .uses_dynamic_stack: false
    .vgpr_count:     8
    .vgpr_spill_count: 0
    .wavefront_size: 64
  - .agpr_count:     0
    .args:
      - .address_space:  global
        .offset:         0
        .size:           8
        .value_kind:     global_buffer
      - .address_space:  global
        .offset:         8
        .size:           8
        .value_kind:     global_buffer
      - .address_space:  global
        .offset:         16
        .size:           8
        .value_kind:     global_buffer
    .group_segment_fixed_size: 4096
    .kernarg_segment_align: 8
    .kernarg_segment_size: 24
    .language:       OpenCL C
    .language_version:
      - 2
      - 0
    .max_flat_workgroup_size: 512
    .name:           _Z25scatter_to_blocked_kernelIxxLj512ELj1EEvPT_PT0_Pj
    .private_segment_fixed_size: 0
    .sgpr_count:     14
    .sgpr_spill_count: 0
    .symbol:         _Z25scatter_to_blocked_kernelIxxLj512ELj1EEvPT_PT0_Pj.kd
    .uniform_work_group_size: 1
    .uses_dynamic_stack: false
    .vgpr_count:     5
    .vgpr_spill_count: 0
    .wavefront_size: 64
  - .agpr_count:     0
    .args:
      - .address_space:  global
        .offset:         0
        .size:           8
        .value_kind:     global_buffer
      - .address_space:  global
        .offset:         8
        .size:           8
        .value_kind:     global_buffer
      - .address_space:  global
        .offset:         16
        .size:           8
        .value_kind:     global_buffer
    .group_segment_fixed_size: 512
    .kernarg_segment_align: 8
    .kernarg_segment_size: 24
    .language:       OpenCL C
    .language_version:
      - 2
      - 0
    .max_flat_workgroup_size: 512
    .name:           _Z25scatter_to_blocked_kernelIs5dummyIiELj256ELj1EEvPT_PT0_Pj
    .private_segment_fixed_size: 0
    .sgpr_count:     14
    .sgpr_spill_count: 0
    .symbol:         _Z25scatter_to_blocked_kernelIs5dummyIiELj256ELj1EEvPT_PT0_Pj.kd
    .uniform_work_group_size: 1
    .uses_dynamic_stack: false
    .vgpr_count:     5
    .vgpr_spill_count: 0
    .wavefront_size: 64
  - .agpr_count:     0
    .args:
      - .address_space:  global
        .offset:         0
        .size:           8
        .value_kind:     global_buffer
      - .address_space:  global
        .offset:         8
        .size:           8
        .value_kind:     global_buffer
      - .address_space:  global
        .offset:         16
        .size:           8
        .value_kind:     global_buffer
    .group_segment_fixed_size: 1024
    .kernarg_segment_align: 8
    .kernarg_segment_size: 24
    .language:       OpenCL C
    .language_version:
      - 2
      - 0
    .max_flat_workgroup_size: 512
    .name:           _Z25scatter_to_blocked_kernelIyyLj128ELj1EEvPT_PT0_Pj
    .private_segment_fixed_size: 0
    .sgpr_count:     14
    .sgpr_spill_count: 0
    .symbol:         _Z25scatter_to_blocked_kernelIyyLj128ELj1EEvPT_PT0_Pj.kd
    .uniform_work_group_size: 1
    .uses_dynamic_stack: false
    .vgpr_count:     5
    .vgpr_spill_count: 0
    .wavefront_size: 64
  - .agpr_count:     0
    .args:
      - .address_space:  global
        .offset:         0
        .size:           8
        .value_kind:     global_buffer
      - .address_space:  global
        .offset:         8
        .size:           8
        .value_kind:     global_buffer
      - .address_space:  global
        .offset:         16
        .size:           8
        .value_kind:     global_buffer
    .group_segment_fixed_size: 256
    .kernarg_segment_align: 8
    .kernarg_segment_size: 24
    .language:       OpenCL C
    .language_version:
      - 2
      - 0
    .max_flat_workgroup_size: 512
    .name:           _Z25scatter_to_blocked_kernelIixLj64ELj1EEvPT_PT0_Pj
    .private_segment_fixed_size: 0
    .sgpr_count:     14
    .sgpr_spill_count: 0
    .symbol:         _Z25scatter_to_blocked_kernelIixLj64ELj1EEvPT_PT0_Pj.kd
    .uniform_work_group_size: 1
    .uses_dynamic_stack: false
    .vgpr_count:     4
    .vgpr_spill_count: 0
    .wavefront_size: 64
  - .agpr_count:     0
    .args:
      - .address_space:  global
        .offset:         0
        .size:           8
        .value_kind:     global_buffer
      - .address_space:  global
        .offset:         8
        .size:           8
        .value_kind:     global_buffer
      - .address_space:  global
        .offset:         16
        .size:           8
        .value_kind:     global_buffer
    .group_segment_fixed_size: 1056
    .kernarg_segment_align: 8
    .kernarg_segment_size: 24
    .language:       OpenCL C
    .language_version:
      - 2
      - 0
    .max_flat_workgroup_size: 512
    .name:           _Z25scatter_to_blocked_kernelI6__halfS0_Lj512ELj4EEvPT_PT0_Pj
    .private_segment_fixed_size: 0
    .sgpr_count:     14
    .sgpr_spill_count: 0
    .symbol:         _Z25scatter_to_blocked_kernelI6__halfS0_Lj512ELj4EEvPT_PT0_Pj.kd
    .uniform_work_group_size: 1
    .uses_dynamic_stack: false
    .vgpr_count:     12
    .vgpr_spill_count: 0
    .wavefront_size: 64
  - .agpr_count:     0
    .args:
      - .address_space:  global
        .offset:         0
        .size:           8
        .value_kind:     global_buffer
      - .address_space:  global
        .offset:         8
        .size:           8
        .value_kind:     global_buffer
      - .address_space:  global
        .offset:         16
        .size:           8
        .value_kind:     global_buffer
    .group_segment_fixed_size: 1056
    .kernarg_segment_align: 8
    .kernarg_segment_size: 24
    .language:       OpenCL C
    .language_version:
      - 2
      - 0
    .max_flat_workgroup_size: 512
    .name:           _Z25scatter_to_blocked_kernelI12hip_bfloat16S0_Lj512ELj4EEvPT_PT0_Pj
    .private_segment_fixed_size: 0
    .sgpr_count:     14
    .sgpr_spill_count: 0
    .symbol:         _Z25scatter_to_blocked_kernelI12hip_bfloat16S0_Lj512ELj4EEvPT_PT0_Pj.kd
    .uniform_work_group_size: 1
    .uses_dynamic_stack: false
    .vgpr_count:     12
    .vgpr_spill_count: 0
    .wavefront_size: 64
  - .agpr_count:     0
    .args:
      - .address_space:  global
        .offset:         0
        .size:           8
        .value_kind:     global_buffer
      - .address_space:  global
        .offset:         8
        .size:           8
        .value_kind:     global_buffer
      - .address_space:  global
        .offset:         16
        .size:           8
        .value_kind:     global_buffer
    .group_segment_fixed_size: 2112
    .kernarg_segment_align: 8
    .kernarg_segment_size: 24
    .language:       OpenCL C
    .language_version:
      - 2
      - 0
    .max_flat_workgroup_size: 512
    .name:           _Z25scatter_to_blocked_kernelIfdLj512ELj4EEvPT_PT0_Pj
    .private_segment_fixed_size: 0
    .sgpr_count:     14
    .sgpr_spill_count: 0
    .symbol:         _Z25scatter_to_blocked_kernelIfdLj512ELj4EEvPT_PT0_Pj.kd
    .uniform_work_group_size: 1
    .uses_dynamic_stack: false
    .vgpr_count:     14
    .vgpr_spill_count: 0
    .wavefront_size: 64
  - .agpr_count:     0
    .args:
      - .address_space:  global
        .offset:         0
        .size:           8
        .value_kind:     global_buffer
      - .address_space:  global
        .offset:         8
        .size:           8
        .value_kind:     global_buffer
      - .address_space:  global
        .offset:         16
        .size:           8
        .value_kind:     global_buffer
    .group_segment_fixed_size: 2112
    .kernarg_segment_align: 8
    .kernarg_segment_size: 24
    .language:       OpenCL C
    .language_version:
      - 2
      - 0
    .max_flat_workgroup_size: 512
    .name:           _Z25scatter_to_blocked_kernelIiiLj512ELj4EEvPT_PT0_Pj
    .private_segment_fixed_size: 0
    .sgpr_count:     14
    .sgpr_spill_count: 0
    .symbol:         _Z25scatter_to_blocked_kernelIiiLj512ELj4EEvPT_PT0_Pj.kd
    .uniform_work_group_size: 1
    .uses_dynamic_stack: false
    .vgpr_count:     14
    .vgpr_spill_count: 0
    .wavefront_size: 64
  - .agpr_count:     0
    .args:
      - .address_space:  global
        .offset:         0
        .size:           8
        .value_kind:     global_buffer
      - .address_space:  global
        .offset:         8
        .size:           8
        .value_kind:     global_buffer
      - .address_space:  global
        .offset:         16
        .size:           8
        .value_kind:     global_buffer
    .group_segment_fixed_size: 4224
    .kernarg_segment_align: 8
    .kernarg_segment_size: 24
    .language:       OpenCL C
    .language_version:
      - 2
      - 0
    .max_flat_workgroup_size: 512
    .name:           _Z25scatter_to_striped_kernelIsiLj2106ELj9EEvPT_PT0_Pj
    .private_segment_fixed_size: 0
    .sgpr_count:     14
    .sgpr_spill_count: 0
    .symbol:         _Z25scatter_to_striped_kernelIsiLj2106ELj9EEvPT_PT0_Pj.kd
    .uniform_work_group_size: 1
    .uses_dynamic_stack: false
    .vgpr_count:     18
    .vgpr_spill_count: 0
    .wavefront_size: 64
  - .agpr_count:     0
    .args:
      - .address_space:  global
        .offset:         0
        .size:           8
        .value_kind:     global_buffer
      - .address_space:  global
        .offset:         8
        .size:           8
        .value_kind:     global_buffer
      - .address_space:  global
        .offset:         16
        .size:           8
        .value_kind:     global_buffer
    .group_segment_fixed_size: 608
    .kernarg_segment_align: 8
    .kernarg_segment_size: 24
    .language:       OpenCL C
    .language_version:
      - 2
      - 0
    .max_flat_workgroup_size: 512
    .name:           _Z25scatter_to_striped_kernelItjLj300ELj3EEvPT_PT0_Pj
    .private_segment_fixed_size: 0
    .sgpr_count:     14
    .sgpr_spill_count: 0
    .symbol:         _Z25scatter_to_striped_kernelItjLj300ELj3EEvPT_PT0_Pj.kd
    .uniform_work_group_size: 1
    .uses_dynamic_stack: false
    .vgpr_count:     9
    .vgpr_spill_count: 0
    .wavefront_size: 64
  - .agpr_count:     0
    .args:
      - .address_space:  global
        .offset:         0
        .size:           8
        .value_kind:     global_buffer
      - .address_space:  global
        .offset:         8
        .size:           8
        .value_kind:     global_buffer
      - .address_space:  global
        .offset:         16
        .size:           8
        .value_kind:     global_buffer
    .group_segment_fixed_size: 960
    .kernarg_segment_align: 8
    .kernarg_segment_size: 24
    .language:       OpenCL C
    .language_version:
      - 2
      - 0
    .max_flat_workgroup_size: 512
    .name:           _Z25scatter_to_striped_kernelIc5dummyIdELj928ELj2EEvPT_PT0_Pj
    .private_segment_fixed_size: 0
    .sgpr_count:     14
    .sgpr_spill_count: 0
    .symbol:         _Z25scatter_to_striped_kernelIc5dummyIdELj928ELj2EEvPT_PT0_Pj.kd
    .uniform_work_group_size: 1
    .uses_dynamic_stack: false
    .vgpr_count:     9
    .vgpr_spill_count: 0
    .wavefront_size: 64
  - .agpr_count:     0
    .args:
      - .address_space:  global
        .offset:         0
        .size:           8
        .value_kind:     global_buffer
      - .address_space:  global
        .offset:         8
        .size:           8
        .value_kind:     global_buffer
      - .address_space:  global
        .offset:         16
        .size:           8
        .value_kind:     global_buffer
    .group_segment_fixed_size: 672
    .kernarg_segment_align: 8
    .kernarg_segment_size: 24
    .language:       OpenCL C
    .language_version:
      - 2
      - 0
    .max_flat_workgroup_size: 512
    .name:           _Z25scatter_to_striped_kernelIfiLj165ELj5EEvPT_PT0_Pj
    .private_segment_fixed_size: 0
    .sgpr_count:     14
    .sgpr_spill_count: 0
    .symbol:         _Z25scatter_to_striped_kernelIfiLj165ELj5EEvPT_PT0_Pj.kd
    .uniform_work_group_size: 1
    .uses_dynamic_stack: false
    .vgpr_count:     13
    .vgpr_spill_count: 0
    .wavefront_size: 64
  - .agpr_count:     0
    .args:
      - .address_space:  global
        .offset:         0
        .size:           8
        .value_kind:     global_buffer
      - .address_space:  global
        .offset:         8
        .size:           8
        .value_kind:     global_buffer
      - .address_space:  global
        .offset:         16
        .size:           8
        .value_kind:     global_buffer
    .group_segment_fixed_size: 672
    .kernarg_segment_align: 8
    .kernarg_segment_size: 24
    .language:       OpenCL C
    .language_version:
      - 2
      - 0
    .max_flat_workgroup_size: 512
    .name:           _Z25scatter_to_striped_kernelIidLj165ELj5EEvPT_PT0_Pj
    .private_segment_fixed_size: 0
    .sgpr_count:     14
    .sgpr_spill_count: 0
    .symbol:         _Z25scatter_to_striped_kernelIidLj165ELj5EEvPT_PT0_Pj.kd
    .uniform_work_group_size: 1
    .uses_dynamic_stack: false
    .vgpr_count:     13
    .vgpr_spill_count: 0
    .wavefront_size: 64
  - .agpr_count:     0
    .args:
      - .address_space:  global
        .offset:         0
        .size:           8
        .value_kind:     global_buffer
      - .address_space:  global
        .offset:         8
        .size:           8
        .value_kind:     global_buffer
      - .address_space:  global
        .offset:         16
        .size:           8
        .value_kind:     global_buffer
    .group_segment_fixed_size: 1536
    .kernarg_segment_align: 8
    .kernarg_segment_size: 24
    .language:       OpenCL C
    .language_version:
      - 2
      - 0
    .max_flat_workgroup_size: 512
    .name:           _Z25scatter_to_striped_kernelIyyLj192ELj3EEvPT_PT0_Pj
    .private_segment_fixed_size: 0
    .sgpr_count:     14
    .sgpr_spill_count: 0
    .symbol:         _Z25scatter_to_striped_kernelIyyLj192ELj3EEvPT_PT0_Pj.kd
    .uniform_work_group_size: 1
    .uses_dynamic_stack: false
    .vgpr_count:     13
    .vgpr_spill_count: 0
    .wavefront_size: 64
  - .agpr_count:     0
    .args:
      - .address_space:  global
        .offset:         0
        .size:           8
        .value_kind:     global_buffer
      - .address_space:  global
        .offset:         8
        .size:           8
        .value_kind:     global_buffer
      - .address_space:  global
        .offset:         16
        .size:           8
        .value_kind:     global_buffer
    .group_segment_fixed_size: 1536
    .kernarg_segment_align: 8
    .kernarg_segment_size: 24
    .language:       OpenCL C
    .language_version:
      - 2
      - 0
    .max_flat_workgroup_size: 512
    .name:           _Z25scatter_to_striped_kernelIiiLj384ELj3EEvPT_PT0_Pj
    .private_segment_fixed_size: 0
    .sgpr_count:     14
    .sgpr_spill_count: 0
    .symbol:         _Z25scatter_to_striped_kernelIiiLj384ELj3EEvPT_PT0_Pj.kd
    .uniform_work_group_size: 1
    .uses_dynamic_stack: false
    .vgpr_count:     10
    .vgpr_spill_count: 0
    .wavefront_size: 64
  - .agpr_count:     0
    .args:
      - .address_space:  global
        .offset:         0
        .size:           8
        .value_kind:     global_buffer
      - .address_space:  global
        .offset:         8
        .size:           8
        .value_kind:     global_buffer
      - .address_space:  global
        .offset:         16
        .size:           8
        .value_kind:     global_buffer
    .group_segment_fixed_size: 1792
    .kernarg_segment_align: 8
    .kernarg_segment_size: 24
    .language:       OpenCL C
    .language_version:
      - 2
      - 0
    .max_flat_workgroup_size: 512
    .name:           _Z25scatter_to_striped_kernelIs5dummyIfELj896ELj7EEvPT_PT0_Pj
    .private_segment_fixed_size: 0
    .sgpr_count:     14
    .sgpr_spill_count: 0
    .symbol:         _Z25scatter_to_striped_kernelIs5dummyIfELj896ELj7EEvPT_PT0_Pj.kd
    .uniform_work_group_size: 1
    .uses_dynamic_stack: false
    .vgpr_count:     20
    .vgpr_spill_count: 0
    .wavefront_size: 64
  - .agpr_count:     0
    .args:
      - .address_space:  global
        .offset:         0
        .size:           8
        .value_kind:     global_buffer
      - .address_space:  global
        .offset:         8
        .size:           8
        .value_kind:     global_buffer
      - .address_space:  global
        .offset:         16
        .size:           8
        .value_kind:     global_buffer
    .group_segment_fixed_size: 10240
    .kernarg_segment_align: 8
    .kernarg_segment_size: 24
    .language:       OpenCL C
    .language_version:
      - 2
      - 0
    .max_flat_workgroup_size: 512
    .name:           _Z25scatter_to_striped_kernelIiiLj2560ELj5EEvPT_PT0_Pj
    .private_segment_fixed_size: 0
    .sgpr_count:     14
    .sgpr_spill_count: 0
    .symbol:         _Z25scatter_to_striped_kernelIiiLj2560ELj5EEvPT_PT0_Pj.kd
    .uniform_work_group_size: 1
    .uses_dynamic_stack: false
    .vgpr_count:     13
    .vgpr_spill_count: 0
    .wavefront_size: 64
  - .agpr_count:     0
    .args:
      - .address_space:  global
        .offset:         0
        .size:           8
        .value_kind:     global_buffer
      - .address_space:  global
        .offset:         8
        .size:           8
        .value_kind:     global_buffer
      - .address_space:  global
        .offset:         16
        .size:           8
        .value_kind:     global_buffer
    .group_segment_fixed_size: 8448
    .kernarg_segment_align: 8
    .kernarg_segment_size: 24
    .language:       OpenCL C
    .language_version:
      - 2
      - 0
    .max_flat_workgroup_size: 512
    .name:           _Z25scatter_to_striped_kernelIxxLj1024ELj4EEvPT_PT0_Pj
    .private_segment_fixed_size: 0
    .sgpr_count:     14
    .sgpr_spill_count: 0
    .symbol:         _Z25scatter_to_striped_kernelIxxLj1024ELj4EEvPT_PT0_Pj.kd
    .uniform_work_group_size: 1
    .uses_dynamic_stack: false
    .vgpr_count:     16
    .vgpr_spill_count: 0
    .wavefront_size: 64
  - .agpr_count:     0
    .args:
      - .address_space:  global
        .offset:         0
        .size:           8
        .value_kind:     global_buffer
      - .address_space:  global
        .offset:         8
        .size:           8
        .value_kind:     global_buffer
      - .address_space:  global
        .offset:         16
        .size:           8
        .value_kind:     global_buffer
    .group_segment_fixed_size: 528
    .kernarg_segment_align: 8
    .kernarg_segment_size: 24
    .language:       OpenCL C
    .language_version:
      - 2
      - 0
    .max_flat_workgroup_size: 512
    .name:           _Z25scatter_to_striped_kernelIiiLj128ELj2EEvPT_PT0_Pj
    .private_segment_fixed_size: 0
    .sgpr_count:     14
    .sgpr_spill_count: 0
    .symbol:         _Z25scatter_to_striped_kernelIiiLj128ELj2EEvPT_PT0_Pj.kd
    .uniform_work_group_size: 1
    .uses_dynamic_stack: false
    .vgpr_count:     7
    .vgpr_spill_count: 0
    .wavefront_size: 64
  - .agpr_count:     0
    .args:
      - .address_space:  global
        .offset:         0
        .size:           8
        .value_kind:     global_buffer
      - .address_space:  global
        .offset:         8
        .size:           8
        .value_kind:     global_buffer
      - .address_space:  global
        .offset:         16
        .size:           8
        .value_kind:     global_buffer
    .group_segment_fixed_size: 4096
    .kernarg_segment_align: 8
    .kernarg_segment_size: 24
    .language:       OpenCL C
    .language_version:
      - 2
      - 0
    .max_flat_workgroup_size: 512
    .name:           _Z25scatter_to_striped_kernelIxxLj512ELj1EEvPT_PT0_Pj
    .private_segment_fixed_size: 0
    .sgpr_count:     14
    .sgpr_spill_count: 0
    .symbol:         _Z25scatter_to_striped_kernelIxxLj512ELj1EEvPT_PT0_Pj.kd
    .uniform_work_group_size: 1
    .uses_dynamic_stack: false
    .vgpr_count:     5
    .vgpr_spill_count: 0
    .wavefront_size: 64
  - .agpr_count:     0
    .args:
      - .address_space:  global
        .offset:         0
        .size:           8
        .value_kind:     global_buffer
      - .address_space:  global
        .offset:         8
        .size:           8
        .value_kind:     global_buffer
      - .address_space:  global
        .offset:         16
        .size:           8
        .value_kind:     global_buffer
    .group_segment_fixed_size: 512
    .kernarg_segment_align: 8
    .kernarg_segment_size: 24
    .language:       OpenCL C
    .language_version:
      - 2
      - 0
    .max_flat_workgroup_size: 512
    .name:           _Z25scatter_to_striped_kernelIs5dummyIiELj256ELj1EEvPT_PT0_Pj
    .private_segment_fixed_size: 0
    .sgpr_count:     14
    .sgpr_spill_count: 0
    .symbol:         _Z25scatter_to_striped_kernelIs5dummyIiELj256ELj1EEvPT_PT0_Pj.kd
    .uniform_work_group_size: 1
    .uses_dynamic_stack: false
    .vgpr_count:     5
    .vgpr_spill_count: 0
    .wavefront_size: 64
  - .agpr_count:     0
    .args:
      - .address_space:  global
        .offset:         0
        .size:           8
        .value_kind:     global_buffer
      - .address_space:  global
        .offset:         8
        .size:           8
        .value_kind:     global_buffer
      - .address_space:  global
        .offset:         16
        .size:           8
        .value_kind:     global_buffer
    .group_segment_fixed_size: 1024
    .kernarg_segment_align: 8
    .kernarg_segment_size: 24
    .language:       OpenCL C
    .language_version:
      - 2
      - 0
    .max_flat_workgroup_size: 512
    .name:           _Z25scatter_to_striped_kernelIyyLj128ELj1EEvPT_PT0_Pj
    .private_segment_fixed_size: 0
    .sgpr_count:     14
    .sgpr_spill_count: 0
    .symbol:         _Z25scatter_to_striped_kernelIyyLj128ELj1EEvPT_PT0_Pj.kd
    .uniform_work_group_size: 1
    .uses_dynamic_stack: false
    .vgpr_count:     5
    .vgpr_spill_count: 0
    .wavefront_size: 64
  - .agpr_count:     0
    .args:
      - .address_space:  global
        .offset:         0
        .size:           8
        .value_kind:     global_buffer
      - .address_space:  global
        .offset:         8
        .size:           8
        .value_kind:     global_buffer
      - .address_space:  global
        .offset:         16
        .size:           8
        .value_kind:     global_buffer
    .group_segment_fixed_size: 256
    .kernarg_segment_align: 8
    .kernarg_segment_size: 24
    .language:       OpenCL C
    .language_version:
      - 2
      - 0
    .max_flat_workgroup_size: 512
    .name:           _Z25scatter_to_striped_kernelIixLj64ELj1EEvPT_PT0_Pj
    .private_segment_fixed_size: 0
    .sgpr_count:     14
    .sgpr_spill_count: 0
    .symbol:         _Z25scatter_to_striped_kernelIixLj64ELj1EEvPT_PT0_Pj.kd
    .uniform_work_group_size: 1
    .uses_dynamic_stack: false
    .vgpr_count:     4
    .vgpr_spill_count: 0
    .wavefront_size: 64
  - .agpr_count:     0
    .args:
      - .address_space:  global
        .offset:         0
        .size:           8
        .value_kind:     global_buffer
      - .address_space:  global
        .offset:         8
        .size:           8
        .value_kind:     global_buffer
      - .address_space:  global
        .offset:         16
        .size:           8
        .value_kind:     global_buffer
    .group_segment_fixed_size: 1056
    .kernarg_segment_align: 8
    .kernarg_segment_size: 24
    .language:       OpenCL C
    .language_version:
      - 2
      - 0
    .max_flat_workgroup_size: 512
    .name:           _Z25scatter_to_striped_kernelI6__halfS0_Lj512ELj4EEvPT_PT0_Pj
    .private_segment_fixed_size: 0
    .sgpr_count:     14
    .sgpr_spill_count: 0
    .symbol:         _Z25scatter_to_striped_kernelI6__halfS0_Lj512ELj4EEvPT_PT0_Pj.kd
    .uniform_work_group_size: 1
    .uses_dynamic_stack: false
    .vgpr_count:     9
    .vgpr_spill_count: 0
    .wavefront_size: 64
  - .agpr_count:     0
    .args:
      - .address_space:  global
        .offset:         0
        .size:           8
        .value_kind:     global_buffer
      - .address_space:  global
        .offset:         8
        .size:           8
        .value_kind:     global_buffer
      - .address_space:  global
        .offset:         16
        .size:           8
        .value_kind:     global_buffer
    .group_segment_fixed_size: 1056
    .kernarg_segment_align: 8
    .kernarg_segment_size: 24
    .language:       OpenCL C
    .language_version:
      - 2
      - 0
    .max_flat_workgroup_size: 512
    .name:           _Z25scatter_to_striped_kernelI12hip_bfloat16S0_Lj512ELj4EEvPT_PT0_Pj
    .private_segment_fixed_size: 0
    .sgpr_count:     14
    .sgpr_spill_count: 0
    .symbol:         _Z25scatter_to_striped_kernelI12hip_bfloat16S0_Lj512ELj4EEvPT_PT0_Pj.kd
    .uniform_work_group_size: 1
    .uses_dynamic_stack: false
    .vgpr_count:     9
    .vgpr_spill_count: 0
    .wavefront_size: 64
  - .agpr_count:     0
    .args:
      - .address_space:  global
        .offset:         0
        .size:           8
        .value_kind:     global_buffer
      - .address_space:  global
        .offset:         8
        .size:           8
        .value_kind:     global_buffer
      - .address_space:  global
        .offset:         16
        .size:           8
        .value_kind:     global_buffer
    .group_segment_fixed_size: 2112
    .kernarg_segment_align: 8
    .kernarg_segment_size: 24
    .language:       OpenCL C
    .language_version:
      - 2
      - 0
    .max_flat_workgroup_size: 512
    .name:           _Z25scatter_to_striped_kernelIfdLj512ELj4EEvPT_PT0_Pj
    .private_segment_fixed_size: 0
    .sgpr_count:     14
    .sgpr_spill_count: 0
    .symbol:         _Z25scatter_to_striped_kernelIfdLj512ELj4EEvPT_PT0_Pj.kd
    .uniform_work_group_size: 1
    .uses_dynamic_stack: false
    .vgpr_count:     11
    .vgpr_spill_count: 0
    .wavefront_size: 64
  - .agpr_count:     0
    .args:
      - .address_space:  global
        .offset:         0
        .size:           8
        .value_kind:     global_buffer
      - .address_space:  global
        .offset:         8
        .size:           8
        .value_kind:     global_buffer
      - .address_space:  global
        .offset:         16
        .size:           8
        .value_kind:     global_buffer
    .group_segment_fixed_size: 2112
    .kernarg_segment_align: 8
    .kernarg_segment_size: 24
    .language:       OpenCL C
    .language_version:
      - 2
      - 0
    .max_flat_workgroup_size: 512
    .name:           _Z25scatter_to_striped_kernelIiiLj512ELj4EEvPT_PT0_Pj
    .private_segment_fixed_size: 0
    .sgpr_count:     14
    .sgpr_spill_count: 0
    .symbol:         _Z25scatter_to_striped_kernelIiiLj512ELj4EEvPT_PT0_Pj.kd
    .uniform_work_group_size: 1
    .uses_dynamic_stack: false
    .vgpr_count:     12
    .vgpr_spill_count: 0
    .wavefront_size: 64
amdhsa.target:   amdgcn-amd-amdhsa--gfx90a
amdhsa.version:
  - 1
  - 2
...

	.end_amdgpu_metadata
